;; amdgpu-corpus repo=GPUOpen-LibrariesAndSDKs/Orochi kind=compiled arch=gfx1100 opt=O3
	.text
	.amdgcn_target "amdgcn-amd-amdhsa--gfx1100"
	.amdhsa_code_object_version 6
	.protected	SortSinglePassKernel    ; -- Begin function SortSinglePassKernel
	.globl	SortSinglePassKernel
	.p2align	8
	.type	SortSinglePassKernel,@function
SortSinglePassKernel:                   ; @SortSinglePassKernel
; %bb.0:
	s_cmp_lg_u32 s15, 0
	s_cbranch_scc0 .LBB0_2
.LBB0_1:
	s_nop 0
	s_sendmsg sendmsg(MSG_DEALLOC_VGPRS)
	s_endpgm
.LBB0_2:
	s_load_b256 s[36:43], s[0:1], 0x0
	v_mul_u32_u24_e32 v25, 24, v0
	v_dual_mov_b32 v22, -1 :: v_dual_mov_b32 v21, -1
	s_delay_alu instid0(VALU_DEP_2)
	v_lshlrev_b32_e32 v32, 2, v25
	s_waitcnt lgkmcnt(0)
	v_cmp_gt_i32_e32 vcc_lo, s40, v25
	s_and_saveexec_b32 s0, vcc_lo
	s_cbranch_execz .LBB0_4
; %bb.3:
	global_load_b32 v21, v32, s[36:37]
.LBB0_4:
	s_or_b32 exec_lo, exec_lo, s0
	v_or_b32_e32 v1, 1, v25
	s_waitcnt vmcnt(0)
	ds_store_b32 v32, v21
	v_cmp_gt_i32_e64 s0, s40, v1
	s_delay_alu instid0(VALU_DEP_1)
	s_and_saveexec_b32 s1, s0
	s_cbranch_execz .LBB0_6
; %bb.5:
	global_load_b32 v22, v32, s[36:37] offset:4
.LBB0_6:
	s_or_b32 exec_lo, exec_lo, s1
	v_or_b32_e32 v1, 2, v25
	v_dual_mov_b32 v24, -1 :: v_dual_mov_b32 v23, -1
	s_waitcnt vmcnt(0)
	ds_store_b32 v32, v22 offset:4
	v_cmp_gt_i32_e64 s1, s40, v1
	s_delay_alu instid0(VALU_DEP_1)
	s_and_saveexec_b32 s2, s1
	s_cbranch_execz .LBB0_8
; %bb.7:
	global_load_b32 v23, v32, s[36:37] offset:8
.LBB0_8:
	s_or_b32 exec_lo, exec_lo, s2
	v_or_b32_e32 v1, 3, v25
	s_waitcnt vmcnt(0)
	ds_store_b32 v32, v23 offset:8
	v_cmp_gt_i32_e64 s2, s40, v1
	s_delay_alu instid0(VALU_DEP_1)
	s_and_saveexec_b32 s3, s2
	s_cbranch_execz .LBB0_10
; %bb.9:
	global_load_b32 v24, v32, s[36:37] offset:12
.LBB0_10:
	s_or_b32 exec_lo, exec_lo, s3
	v_or_b32_e32 v1, 4, v25
	v_dual_mov_b32 v18, -1 :: v_dual_mov_b32 v17, -1
	s_waitcnt vmcnt(0)
	ds_store_b32 v32, v24 offset:12
	v_cmp_gt_i32_e64 s3, s40, v1
	s_delay_alu instid0(VALU_DEP_1)
	s_and_saveexec_b32 s4, s3
	s_cbranch_execz .LBB0_12
; %bb.11:
	global_load_b32 v17, v32, s[36:37] offset:16
.LBB0_12:
	s_or_b32 exec_lo, exec_lo, s4
	v_or_b32_e32 v1, 5, v25
	s_waitcnt vmcnt(0)
	ds_store_b32 v32, v17 offset:16
	;; [unrolled: 23-line block ×3, first 2 shown]
	v_cmp_gt_i32_e64 s6, s40, v1
	s_delay_alu instid0(VALU_DEP_1)
	s_and_saveexec_b32 s7, s6
	s_cbranch_execz .LBB0_18
; %bb.17:
	global_load_b32 v20, v32, s[36:37] offset:28
.LBB0_18:
	s_or_b32 exec_lo, exec_lo, s7
	v_dual_mov_b32 v14, -1 :: v_dual_add_nc_u32 v1, 8, v25
	v_mov_b32_e32 v13, -1
	s_waitcnt vmcnt(0)
	ds_store_b32 v32, v20 offset:28
	v_cmp_gt_i32_e64 s7, s40, v1
	s_delay_alu instid0(VALU_DEP_1)
	s_and_saveexec_b32 s8, s7
	s_cbranch_execz .LBB0_20
; %bb.19:
	global_load_b32 v13, v32, s[36:37] offset:32
.LBB0_20:
	s_or_b32 exec_lo, exec_lo, s8
	v_add_nc_u32_e32 v1, 9, v25
	s_waitcnt vmcnt(0)
	ds_store_b32 v32, v13 offset:32
	v_cmp_gt_i32_e64 s8, s40, v1
	s_delay_alu instid0(VALU_DEP_1)
	s_and_saveexec_b32 s9, s8
	s_cbranch_execz .LBB0_22
; %bb.21:
	global_load_b32 v14, v32, s[36:37] offset:36
.LBB0_22:
	s_or_b32 exec_lo, exec_lo, s9
	v_dual_mov_b32 v16, -1 :: v_dual_add_nc_u32 v1, 10, v25
	v_mov_b32_e32 v15, -1
	s_waitcnt vmcnt(0)
	ds_store_b32 v32, v14 offset:36
	v_cmp_gt_i32_e64 s9, s40, v1
	s_delay_alu instid0(VALU_DEP_1)
	s_and_saveexec_b32 s10, s9
	s_cbranch_execz .LBB0_24
; %bb.23:
	global_load_b32 v15, v32, s[36:37] offset:40
.LBB0_24:
	s_or_b32 exec_lo, exec_lo, s10
	v_add_nc_u32_e32 v1, 11, v25
	s_waitcnt vmcnt(0)
	ds_store_b32 v32, v15 offset:40
	;; [unrolled: 23-line block ×6, first 2 shown]
	v_cmp_gt_i32_e64 s18, s40, v1
	s_delay_alu instid0(VALU_DEP_1)
	s_and_saveexec_b32 s19, s18
	s_cbranch_execz .LBB0_42
; %bb.41:
	global_load_b32 v8, v32, s[36:37] offset:76
.LBB0_42:
	s_or_b32 exec_lo, exec_lo, s19
	v_dual_mov_b32 v2, -1 :: v_dual_add_nc_u32 v1, 20, v25
	s_waitcnt vmcnt(0)
	ds_store_b32 v32, v8 offset:76
	v_cmp_gt_i32_e64 s19, s40, v1
	v_mov_b32_e32 v1, -1
	s_delay_alu instid0(VALU_DEP_2)
	s_and_saveexec_b32 s20, s19
	s_cbranch_execz .LBB0_44
; %bb.43:
	global_load_b32 v1, v32, s[36:37] offset:80
.LBB0_44:
	s_or_b32 exec_lo, exec_lo, s20
	v_add_nc_u32_e32 v3, 21, v25
	s_waitcnt vmcnt(0)
	ds_store_b32 v32, v1 offset:80
	v_cmp_gt_i32_e64 s20, s40, v3
	s_delay_alu instid0(VALU_DEP_1)
	s_and_saveexec_b32 s21, s20
	s_cbranch_execz .LBB0_46
; %bb.45:
	global_load_b32 v2, v32, s[36:37] offset:84
.LBB0_46:
	s_or_b32 exec_lo, exec_lo, s21
	v_dual_mov_b32 v4, -1 :: v_dual_add_nc_u32 v3, 22, v25
	s_waitcnt vmcnt(0)
	ds_store_b32 v32, v2 offset:84
	v_cmp_gt_i32_e64 s21, s40, v3
	v_mov_b32_e32 v3, -1
	s_delay_alu instid0(VALU_DEP_2)
	s_and_saveexec_b32 s22, s21
	s_cbranch_execz .LBB0_48
; %bb.47:
	global_load_b32 v3, v32, s[36:37] offset:88
.LBB0_48:
	s_or_b32 exec_lo, exec_lo, s22
	v_add_nc_u32_e32 v25, 23, v25
	s_waitcnt vmcnt(0)
	ds_store_b32 v32, v3 offset:88
	v_cmp_gt_i32_e64 s22, s40, v25
	s_delay_alu instid0(VALU_DEP_1)
	s_and_saveexec_b32 s23, s22
	s_cbranch_execz .LBB0_50
; %bb.49:
	global_load_b32 v4, v32, s[36:37] offset:92
.LBB0_50:
	s_or_b32 exec_lo, exec_lo, s23
	s_cmp_lt_i32 s41, s42
	s_waitcnt vmcnt(0)
	ds_store_b32 v32, v4 offset:92
	s_waitcnt lgkmcnt(0)
	s_barrier
	buffer_gl0_inv
	s_cbranch_scc0 .LBB0_325
; %bb.51:
	s_mov_b32 s34, 0
	v_lshl_add_u32 v33, v0, 5, 0x3000
	s_mov_b32 s35, s34
	v_lshlrev_b32_e32 v25, 1, v0
	v_lshlrev_b32_e32 v30, 3, v0
	s_mov_b32 s36, s34
	s_mov_b32 s37, s34
	v_mul_i32_i24_e32 v31, 0xffffffe4, v0
	v_or_b32_e32 v26, 1, v25
	v_add_nc_u32_e32 v25, 2, v25
	v_cmp_gt_u32_e64 s23, 64, v0
	v_cmp_gt_u32_e64 s24, 32, v0
	v_dual_mov_b32 v27, s36 :: v_dual_mov_b32 v28, s37
	s_delay_alu instid0(VALU_DEP_4)
	v_lshlrev_b32_e32 v35, 4, v25
	v_dual_mov_b32 v29, 0 :: v_dual_lshlrev_b32 v36, 4, v26
	v_lshlrev_b32_e32 v37, 5, v25
	v_lshlrev_b32_e32 v38, 5, v26
	v_lshlrev_b32_e32 v39, 6, v25
	v_lshlrev_b32_e32 v40, 6, v26
	v_lshlrev_b32_e32 v41, 7, v25
	v_lshlrev_b32_e32 v42, 7, v26
	v_lshlrev_b32_e32 v43, 8, v25
	v_lshlrev_b32_e32 v44, 8, v26
	v_lshlrev_b32_e32 v46, 2, v26
	v_lshlrev_b32_e32 v47, 2, v25
	v_lshlrev_b32_e32 v48, 3, v26
	v_lshlrev_b32_e32 v49, 3, v25
	v_dual_mov_b32 v25, s34 :: v_dual_add_nc_u32 v34, 0x4020, v30
	v_cmp_gt_u32_e64 s25, 16, v0
	v_cmp_gt_u32_e64 s26, 8, v0
	;; [unrolled: 1-line block ×4, first 2 shown]
	v_cmp_eq_u32_e64 s29, 0, v0
	v_lshl_or_b32 v45, v0, 2, 0x4000
	v_mul_u32_u24_e32 v50, 0x60, v0
	v_dual_mov_b32 v26, s35 :: v_dual_add_nc_u32 v51, v34, v30
	v_add_nc_u32_e32 v52, v33, v31
	s_branch .LBB0_53
.LBB0_52:                               ;   in Loop: Header=BB0_53 Depth=1
	s_or_b32 exec_lo, exec_lo, s30
	s_waitcnt lgkmcnt(0)
	s_barrier
	buffer_gl0_inv
	s_barrier
	buffer_gl0_inv
	;; [unrolled: 2-line block ×3, first 2 shown]
	ds_load_u16 v30, v116
	v_lshl_or_b32 v31, v120, 3, v123
	s_add_i32 s41, s31, 4
	s_delay_alu instid0(SALU_CYCLE_1) | instskip(SKIP_4) | instid1(VALU_DEP_2)
	s_cmp_ge_i32 s41, s42
	ds_load_u16 v31, v31 offset:16384
	s_waitcnt lgkmcnt(1)
	v_and_b32_e32 v53, 0xffff, v30
	v_add_nc_u16 v30, v30, 1
	v_lshlrev_b32_e32 v53, 2, v53
	ds_store_b16 v116, v30
	ds_load_u16 v30, v114
	s_waitcnt lgkmcnt(2)
	v_lshl_add_u32 v31, v31, 2, v53
	v_lshl_or_b32 v53, v122, 3, v124
	ds_load_u16 v53, v53 offset:16384
	s_waitcnt lgkmcnt(1)
	v_and_b32_e32 v116, 0xffff, v30
	v_add_nc_u16 v30, v30, 1
	ds_store_b32 v31, v20
	v_lshl_or_b32 v31, v119, 3, v121
	v_lshlrev_b32_e32 v116, 2, v116
	ds_store_b16 v114, v30
	ds_load_u16 v30, v111
	ds_load_u16 v31, v31 offset:16384
	s_waitcnt lgkmcnt(4)
	v_lshl_add_u32 v20, v53, 2, v116
	s_waitcnt lgkmcnt(1)
	v_and_b32_e32 v53, 0xffff, v30
	v_add_nc_u16 v30, v30, 1
	ds_store_b32 v20, v21
	v_lshlrev_b32_e32 v53, 2, v53
	ds_store_b16 v111, v30
	ds_load_u16 v21, v108
	v_lshl_or_b32 v30, v117, 3, v118
	s_waitcnt lgkmcnt(3)
	v_lshl_add_u32 v20, v31, 2, v53
	ds_load_u16 v30, v30 offset:16384
	s_waitcnt lgkmcnt(1)
	v_and_b32_e32 v31, 0xffff, v21
	v_add_nc_u16 v21, v21, 1
	ds_store_b32 v20, v22
	v_lshl_or_b32 v22, v113, 3, v115
	v_lshlrev_b32_e32 v31, 2, v31
	ds_store_b16 v108, v21
	ds_load_u16 v21, v105
	ds_load_u16 v22, v22 offset:16384
	s_waitcnt lgkmcnt(4)
	v_lshl_add_u32 v20, v30, 2, v31
	s_waitcnt lgkmcnt(1)
	v_and_b32_e32 v30, 0xffff, v21
	v_add_nc_u16 v21, v21, 1
	ds_store_b32 v20, v23
	v_lshlrev_b32_e32 v30, 2, v30
	ds_store_b16 v105, v21
	ds_load_u16 v21, v102
	s_waitcnt lgkmcnt(3)
	v_lshl_add_u32 v20, v22, 2, v30
	v_lshl_or_b32 v22, v110, 3, v112
	ds_load_u16 v22, v22 offset:16384
	s_waitcnt lgkmcnt(1)
	v_and_b32_e32 v23, 0xffff, v21
	v_add_nc_u16 v21, v21, 1
	ds_store_b32 v20, v8
	v_lshlrev_b32_e32 v23, 2, v23
	ds_store_b16 v102, v21
	ds_load_u16 v20, v98
	v_lshl_or_b32 v21, v107, 3, v109
	s_waitcnt lgkmcnt(3)
	v_lshl_add_u32 v8, v22, 2, v23
	ds_load_u16 v21, v21 offset:16384
	s_waitcnt lgkmcnt(1)
	v_and_b32_e32 v22, 0xffff, v20
	v_add_nc_u16 v20, v20, 1
	ds_store_b32 v8, v9
	v_lshlrev_b32_e32 v22, 2, v22
	ds_store_b16 v98, v20
	ds_load_u16 v9, v95
	v_lshl_or_b32 v20, v100, 3, v106
	s_waitcnt lgkmcnt(3)
	v_lshl_add_u32 v8, v21, 2, v22
	ds_load_u16 v20, v20 offset:16384
	s_waitcnt lgkmcnt(1)
	v_and_b32_e32 v21, 0xffff, v9
	v_add_nc_u16 v9, v9, 1
	ds_store_b32 v8, v10
	v_lshl_or_b32 v10, v103, 3, v104
	v_lshlrev_b32_e32 v21, 2, v21
	ds_store_b16 v95, v9
	ds_load_u16 v9, v93
	ds_load_u16 v10, v10 offset:16384
	s_waitcnt lgkmcnt(4)
	v_lshl_add_u32 v8, v20, 2, v21
	s_waitcnt lgkmcnt(1)
	v_and_b32_e32 v20, 0xffff, v9
	v_add_nc_u16 v9, v9, 1
	ds_store_b32 v8, v11
	v_lshlrev_b32_e32 v20, 2, v20
	ds_store_b16 v93, v9
	ds_load_u16 v9, v90
	s_waitcnt lgkmcnt(3)
	v_lshl_add_u32 v8, v10, 2, v20
	v_lshl_or_b32 v10, v99, 3, v101
	ds_load_u16 v10, v10 offset:16384
	s_waitcnt lgkmcnt(1)
	v_and_b32_e32 v11, 0xffff, v9
	v_add_nc_u16 v9, v9, 1
	ds_store_b32 v8, v16
	v_lshlrev_b32_e32 v11, 2, v11
	ds_store_b16 v90, v9
	ds_load_u16 v9, v87
	s_waitcnt lgkmcnt(3)
	v_lshl_add_u32 v8, v10, 2, v11
	v_lshl_or_b32 v10, v96, 3, v97
	ds_load_u16 v10, v10 offset:16384
	;; [unrolled: 11-line block ×5, first 2 shown]
	s_waitcnt lgkmcnt(1)
	v_and_b32_e32 v11, 0xffff, v9
	v_add_nc_u16 v9, v9, 1
	ds_store_b32 v8, v4
	v_lshlrev_b32_e32 v11, 2, v11
	ds_store_b16 v78, v9
	ds_load_u16 v8, v74
	v_lshl_or_b32 v9, v83, 3, v85
	s_waitcnt lgkmcnt(3)
	v_lshl_add_u32 v4, v10, 2, v11
	ds_load_u16 v9, v9 offset:16384
	s_waitcnt lgkmcnt(1)
	v_and_b32_e32 v10, 0xffff, v8
	v_add_nc_u16 v8, v8, 1
	ds_store_b32 v4, v5
	v_lshlrev_b32_e32 v10, 2, v10
	ds_store_b16 v74, v8
	ds_load_u16 v5, v71
	v_lshl_or_b32 v8, v76, 3, v82
	s_waitcnt lgkmcnt(3)
	v_lshl_add_u32 v4, v9, 2, v10
	ds_load_u16 v8, v8 offset:16384
	s_waitcnt lgkmcnt(1)
	v_and_b32_e32 v9, 0xffff, v5
	v_add_nc_u16 v5, v5, 1
	ds_store_b32 v4, v6
	v_lshl_or_b32 v6, v79, 3, v80
	v_lshlrev_b32_e32 v9, 2, v9
	ds_store_b16 v71, v5
	ds_load_u16 v5, v69
	ds_load_u16 v6, v6 offset:16384
	s_waitcnt lgkmcnt(4)
	v_lshl_add_u32 v4, v8, 2, v9
	s_waitcnt lgkmcnt(1)
	v_and_b32_e32 v8, 0xffff, v5
	v_add_nc_u16 v5, v5, 1
	ds_store_b32 v4, v7
	v_lshlrev_b32_e32 v8, 2, v8
	ds_store_b16 v69, v5
	ds_load_u16 v5, v66
	s_waitcnt lgkmcnt(3)
	v_lshl_add_u32 v4, v6, 2, v8
	v_lshl_or_b32 v6, v75, 3, v77
	ds_load_u16 v6, v6 offset:16384
	s_waitcnt lgkmcnt(1)
	v_and_b32_e32 v7, 0xffff, v5
	v_add_nc_u16 v5, v5, 1
	ds_store_b32 v4, v12
	v_lshlrev_b32_e32 v7, 2, v7
	ds_store_b16 v66, v5
	ds_load_u16 v5, v63
	s_waitcnt lgkmcnt(3)
	v_lshl_add_u32 v4, v6, 2, v7
	v_lshl_or_b32 v6, v72, 3, v73
	ds_load_u16 v6, v6 offset:16384
	;; [unrolled: 11-line block ×5, first 2 shown]
	s_waitcnt lgkmcnt(1)
	v_and_b32_e32 v7, 0xffff, v5
	v_add_nc_u16 v5, v5, 1
	ds_store_b32 v4, v0
	v_lshlrev_b32_e32 v7, 2, v7
	ds_store_b16 v55, v5
	ds_load_u16 v4, v54
	v_lshl_or_b32 v5, v59, 3, v61
	s_waitcnt lgkmcnt(3)
	v_lshl_add_u32 v0, v6, 2, v7
	ds_load_u16 v5, v5 offset:16384
	s_waitcnt lgkmcnt(1)
	v_and_b32_e32 v6, 0xffff, v4
	v_add_nc_u16 v4, v4, 1
	ds_store_b32 v0, v1
	v_lshlrev_b32_e32 v6, 2, v6
	ds_store_b16 v54, v4
	ds_load_u16 v1, v24
	v_lshl_or_b32 v4, v56, 3, v58
	s_waitcnt lgkmcnt(3)
	v_lshl_add_u32 v0, v5, 2, v6
	ds_load_u16 v4, v4 offset:16384
	s_waitcnt lgkmcnt(1)
	v_and_b32_e32 v5, 0xffff, v1
	v_add_nc_u16 v1, v1, 1
	s_delay_alu instid0(VALU_DEP_2) | instskip(SKIP_1) | instid1(VALU_DEP_1)
	v_lshlrev_b32_e32 v5, 2, v5
	s_waitcnt lgkmcnt(0)
	v_lshl_add_u32 v4, v4, 2, v5
	ds_store_b32 v0, v2
	ds_store_b16 v24, v1
	ds_store_b32 v4, v3
	s_waitcnt lgkmcnt(0)
	s_barrier
	buffer_gl0_inv
	ds_load_b128 v[21:24], v50
	ds_load_b128 v[17:20], v50 offset:16
	ds_load_b128 v[13:16], v50 offset:32
	;; [unrolled: 1-line block ×5, first 2 shown]
	s_cbranch_scc1 .LBB0_325
.LBB0_53:                               ; =>This Inner Loop Header: Depth=1
	s_waitcnt lgkmcnt(5)
	v_ashrrev_i32_e32 v0, s41, v21
	ds_store_2addr_b64 v33, v[25:26], v[27:28] offset1:1
	ds_store_2addr_b64 v33, v[25:26], v[27:28] offset0:2 offset1:3
	v_and_b32_e32 v30, 3, v0
	v_bfe_u32 v122, v0, 2, 2
	s_delay_alu instid0(VALU_DEP_2) | instskip(NEXT) | instid1(VALU_DEP_2)
	v_lshlrev_b32_e32 v124, 1, v30
	v_lshlrev_b32_e32 v0, 3, v122
	v_ashrrev_i32_e32 v30, s41, v22
	s_delay_alu instid0(VALU_DEP_2) | instskip(NEXT) | instid1(VALU_DEP_2)
	v_or3_b32 v116, v33, v0, v124
	v_and_b32_e32 v31, 3, v30
	v_bfe_u32 v121, v30, 2, 2
	ds_load_u16 v0, v116
	v_lshlrev_b32_e32 v123, 1, v31
	v_lshlrev_b32_e32 v30, 3, v121
	s_delay_alu instid0(VALU_DEP_1) | instskip(SKIP_1) | instid1(VALU_DEP_1)
	v_or3_b32 v114, v33, v30, v123
	v_ashrrev_i32_e32 v30, s41, v23
	v_and_b32_e32 v31, 3, v30
	v_bfe_u32 v119, v30, 2, 2
	s_delay_alu instid0(VALU_DEP_2) | instskip(NEXT) | instid1(VALU_DEP_2)
	v_lshlrev_b32_e32 v120, 1, v31
	v_lshlrev_b32_e32 v30, 3, v119
	s_waitcnt lgkmcnt(0)
	v_add_nc_u16 v0, v0, 1
	s_delay_alu instid0(VALU_DEP_2) | instskip(SKIP_3) | instid1(VALU_DEP_1)
	v_or3_b32 v111, v33, v30, v120
	ds_store_b16 v116, v0
	ds_load_u16 v0, v114
	v_ashrrev_i32_e32 v30, s41, v24
	v_and_b32_e32 v31, 3, v30
	v_bfe_u32 v117, v30, 2, 2
	s_delay_alu instid0(VALU_DEP_2) | instskip(NEXT) | instid1(VALU_DEP_2)
	v_lshlrev_b32_e32 v118, 1, v31
	v_lshlrev_b32_e32 v30, 3, v117
	s_delay_alu instid0(VALU_DEP_1) | instskip(SKIP_3) | instid1(VALU_DEP_2)
	v_or3_b32 v108, v33, v30, v118
	v_ashrrev_i32_e32 v30, s41, v17
	s_waitcnt lgkmcnt(0)
	v_add_nc_u16 v0, v0, 1
	v_and_b32_e32 v31, 3, v30
	v_bfe_u32 v113, v30, 2, 2
	ds_store_b16 v114, v0
	ds_load_u16 v0, v111
	v_lshlrev_b32_e32 v115, 1, v31
	v_lshlrev_b32_e32 v30, 3, v113
	s_delay_alu instid0(VALU_DEP_1) | instskip(SKIP_1) | instid1(VALU_DEP_1)
	v_or3_b32 v105, v33, v30, v115
	v_ashrrev_i32_e32 v30, s41, v18
	v_and_b32_e32 v31, 3, v30
	v_bfe_u32 v110, v30, 2, 2
	s_delay_alu instid0(VALU_DEP_2) | instskip(SKIP_2) | instid1(VALU_DEP_3)
	v_lshlrev_b32_e32 v112, 1, v31
	s_waitcnt lgkmcnt(0)
	v_add_nc_u16 v0, v0, 1
	v_lshlrev_b32_e32 v30, 3, v110
	ds_store_b16 v111, v0
	ds_load_u16 v0, v108
	v_or3_b32 v102, v33, v30, v112
	v_ashrrev_i32_e32 v30, s41, v19
	s_delay_alu instid0(VALU_DEP_1) | instskip(SKIP_1) | instid1(VALU_DEP_2)
	v_and_b32_e32 v31, 3, v30
	v_bfe_u32 v107, v30, 2, 2
	v_lshlrev_b32_e32 v109, 1, v31
	s_delay_alu instid0(VALU_DEP_2) | instskip(NEXT) | instid1(VALU_DEP_1)
	v_lshlrev_b32_e32 v30, 3, v107
	v_or3_b32 v99, v33, v30, v109
	v_ashrrev_i32_e32 v30, s41, v20
	s_waitcnt lgkmcnt(0)
	v_add_nc_u16 v0, v0, 1
	s_delay_alu instid0(VALU_DEP_2) | instskip(SKIP_4) | instid1(VALU_DEP_2)
	v_and_b32_e32 v31, 3, v30
	ds_store_b16 v108, v0
	ds_load_u16 v0, v105
	v_bfe_u32 v104, v30, 2, 2
	v_lshlrev_b32_e32 v106, 1, v31
	v_lshlrev_b32_e32 v30, 3, v104
	s_delay_alu instid0(VALU_DEP_1) | instskip(SKIP_1) | instid1(VALU_DEP_1)
	v_or3_b32 v96, v33, v30, v106
	v_ashrrev_i32_e32 v30, s41, v13
	v_and_b32_e32 v31, 3, v30
	v_bfe_u32 v101, v30, 2, 2
	s_waitcnt lgkmcnt(0)
	v_add_nc_u16 v0, v0, 1
	s_delay_alu instid0(VALU_DEP_3) | instskip(NEXT) | instid1(VALU_DEP_3)
	v_lshlrev_b32_e32 v103, 1, v31
	v_lshlrev_b32_e32 v30, 3, v101
	ds_store_b16 v105, v0
	ds_load_u16 v0, v102
	v_or3_b32 v93, v33, v30, v103
	v_ashrrev_i32_e32 v30, s41, v14
	s_delay_alu instid0(VALU_DEP_1) | instskip(SKIP_1) | instid1(VALU_DEP_2)
	v_and_b32_e32 v31, 3, v30
	v_bfe_u32 v98, v30, 2, 2
	v_lshlrev_b32_e32 v100, 1, v31
	s_delay_alu instid0(VALU_DEP_2) | instskip(NEXT) | instid1(VALU_DEP_1)
	v_lshlrev_b32_e32 v30, 3, v98
	v_or3_b32 v90, v33, v30, v100
	s_waitcnt lgkmcnt(0)
	v_add_nc_u16 v0, v0, 1
	v_ashrrev_i32_e32 v30, s41, v15
	ds_store_b16 v102, v0
	ds_load_u16 v0, v99
	v_and_b32_e32 v31, 3, v30
	v_bfe_u32 v95, v30, 2, 2
	s_delay_alu instid0(VALU_DEP_2) | instskip(NEXT) | instid1(VALU_DEP_2)
	v_lshlrev_b32_e32 v97, 1, v31
	v_lshlrev_b32_e32 v30, 3, v95
	s_delay_alu instid0(VALU_DEP_1) | instskip(SKIP_1) | instid1(VALU_DEP_1)
	v_or3_b32 v87, v33, v30, v97
	v_ashrrev_i32_e32 v30, s41, v16
	v_and_b32_e32 v31, 3, v30
	v_bfe_u32 v92, v30, 2, 2
	s_waitcnt lgkmcnt(0)
	v_add_nc_u16 v0, v0, 1
	s_delay_alu instid0(VALU_DEP_3) | instskip(NEXT) | instid1(VALU_DEP_3)
	v_lshlrev_b32_e32 v94, 1, v31
	v_lshlrev_b32_e32 v30, 3, v92
	ds_store_b16 v99, v0
	ds_load_u16 v0, v96
	v_or3_b32 v84, v33, v30, v94
	v_ashrrev_i32_e32 v30, s41, v9
	s_delay_alu instid0(VALU_DEP_1) | instskip(SKIP_1) | instid1(VALU_DEP_2)
	v_and_b32_e32 v31, 3, v30
	v_bfe_u32 v89, v30, 2, 2
	v_lshlrev_b32_e32 v91, 1, v31
	s_delay_alu instid0(VALU_DEP_2) | instskip(NEXT) | instid1(VALU_DEP_1)
	v_lshlrev_b32_e32 v30, 3, v89
	v_or3_b32 v81, v33, v30, v91
	s_waitcnt lgkmcnt(0)
	v_add_nc_u16 v0, v0, 1
	v_ashrrev_i32_e32 v30, s41, v10
	ds_store_b16 v96, v0
	ds_load_u16 v0, v93
	v_and_b32_e32 v31, 3, v30
	v_bfe_u32 v86, v30, 2, 2
	s_delay_alu instid0(VALU_DEP_2) | instskip(NEXT) | instid1(VALU_DEP_2)
	;; [unrolled: 31-line block ×4, first 2 shown]
	v_lshlrev_b32_e32 v70, 1, v31
	v_lshlrev_b32_e32 v30, 3, v67
	s_delay_alu instid0(VALU_DEP_1) | instskip(SKIP_1) | instid1(VALU_DEP_1)
	v_or3_b32 v59, v33, v30, v70
	v_ashrrev_i32_e32 v30, s41, v1
	v_and_b32_e32 v31, 3, v30
	v_bfe_u32 v66, v30, 2, 2
	s_waitcnt lgkmcnt(0)
	v_add_nc_u16 v0, v0, 1
	s_delay_alu instid0(VALU_DEP_3) | instskip(NEXT) | instid1(VALU_DEP_3)
	v_lshlrev_b32_e32 v68, 1, v31
	v_lshlrev_b32_e32 v30, 3, v66
	ds_store_b16 v81, v0
	ds_load_u16 v0, v78
	v_or3_b32 v57, v33, v30, v68
	v_ashrrev_i32_e32 v30, s41, v2
	s_delay_alu instid0(VALU_DEP_1) | instskip(SKIP_1) | instid1(VALU_DEP_2)
	v_and_b32_e32 v31, 3, v30
	v_bfe_u32 v63, v30, 2, 2
	v_lshlrev_b32_e32 v64, 1, v31
	s_delay_alu instid0(VALU_DEP_2) | instskip(SKIP_2) | instid1(VALU_DEP_2)
	v_lshlrev_b32_e32 v30, 3, v63
	s_waitcnt lgkmcnt(0)
	v_add_nc_u16 v0, v0, 1
	v_or3_b32 v55, v33, v30, v64
	v_ashrrev_i32_e32 v30, s41, v3
	ds_store_b16 v78, v0
	ds_load_u16 v0, v75
	v_and_b32_e32 v31, 3, v30
	v_bfe_u32 v60, v30, 2, 2
	s_delay_alu instid0(VALU_DEP_2) | instskip(NEXT) | instid1(VALU_DEP_2)
	v_lshlrev_b32_e32 v61, 1, v31
	v_lshlrev_b32_e32 v30, 3, v60
	s_delay_alu instid0(VALU_DEP_1) | instskip(SKIP_1) | instid1(VALU_DEP_1)
	v_or3_b32 v54, v33, v30, v61
	v_ashrrev_i32_e32 v30, s41, v4
	v_and_b32_e32 v31, 3, v30
	v_bfe_u32 v56, v30, 2, 2
	s_waitcnt lgkmcnt(0)
	v_add_nc_u16 v0, v0, 1
	s_delay_alu instid0(VALU_DEP_3) | instskip(NEXT) | instid1(VALU_DEP_3)
	v_lshlrev_b32_e32 v58, 1, v31
	v_lshlrev_b32_e32 v30, 3, v56
	ds_store_b16 v75, v0
	ds_load_u16 v0, v72
	s_waitcnt lgkmcnt(0)
	v_add_nc_u16 v0, v0, 1
	ds_store_b16 v72, v0
	ds_load_u16 v0, v69
	s_waitcnt lgkmcnt(0)
	v_add_nc_u16 v0, v0, 1
	;; [unrolled: 4-line block ×8, first 2 shown]
	v_or3_b32 v0, v33, v30, v58
	ds_store_b16 v54, v31
	ds_load_u16 v30, v0
	s_waitcnt lgkmcnt(0)
	v_add_nc_u16 v30, v30, 1
	ds_store_b16 v0, v30
	s_waitcnt lgkmcnt(0)
	s_barrier
	buffer_gl0_inv
	ds_load_b64 v[30:31], v33
	s_waitcnt lgkmcnt(0)
	ds_store_b64 v34, v[30:31]
	s_waitcnt lgkmcnt(0)
	s_barrier
	buffer_gl0_inv
	s_and_saveexec_b32 s31, s23
	s_cbranch_execz .LBB0_55
; %bb.54:                               ;   in Loop: Header=BB0_53 Depth=1
	ds_load_b128 v[125:128], v51
	s_waitcnt lgkmcnt(0)
	v_add_co_u32 v30, s30, v127, v125
	s_delay_alu instid0(VALU_DEP_1)
	v_add_co_ci_u32_e64 v31, s30, v128, v126, s30
	ds_store_b64 v51, v[30:31] offset:8
.LBB0_55:                               ;   in Loop: Header=BB0_53 Depth=1
	s_or_b32 exec_lo, exec_lo, s31
	s_waitcnt lgkmcnt(0)
	s_barrier
	buffer_gl0_inv
	s_and_saveexec_b32 s31, s24
	s_cbranch_execz .LBB0_57
; %bb.56:                               ;   in Loop: Header=BB0_53 Depth=1
	ds_load_b64 v[30:31], v36 offset:16408
	ds_load_b64 v[125:126], v35 offset:16408
	s_waitcnt lgkmcnt(0)
	v_add_co_u32 v30, s30, v125, v30
	s_delay_alu instid0(VALU_DEP_1)
	v_add_co_ci_u32_e64 v31, s30, v126, v31, s30
	ds_store_b64 v35, v[30:31] offset:16408
.LBB0_57:                               ;   in Loop: Header=BB0_53 Depth=1
	s_or_b32 exec_lo, exec_lo, s31
	s_waitcnt lgkmcnt(0)
	s_barrier
	buffer_gl0_inv
	s_and_saveexec_b32 s31, s25
	s_cbranch_execz .LBB0_59
; %bb.58:                               ;   in Loop: Header=BB0_53 Depth=1
	ds_load_b64 v[30:31], v38 offset:16408
	ds_load_b64 v[125:126], v37 offset:16408
	s_waitcnt lgkmcnt(0)
	v_add_co_u32 v30, s30, v125, v30
	s_delay_alu instid0(VALU_DEP_1)
	v_add_co_ci_u32_e64 v31, s30, v126, v31, s30
	ds_store_b64 v37, v[30:31] offset:16408
.LBB0_59:                               ;   in Loop: Header=BB0_53 Depth=1
	;; [unrolled: 15-line block ×5, first 2 shown]
	s_or_b32 exec_lo, exec_lo, s31
	v_add_nc_u32_e64 v53, 24, 0
	s_waitcnt lgkmcnt(0)
	s_barrier
	buffer_gl0_inv
	s_and_saveexec_b32 s31, s29
	s_cbranch_execz .LBB0_67
; %bb.66:                               ;   in Loop: Header=BB0_53 Depth=1
	ds_load_2addr_stride64_b64 v[125:128], v53 offset0:33 offset1:34
	s_waitcnt lgkmcnt(0)
	v_add_co_u32 v30, s30, v127, v125
	s_delay_alu instid0(VALU_DEP_1)
	v_add_co_ci_u32_e64 v31, s30, v128, v126, s30
	ds_store_b64 v29, v[30:31] offset:17432
.LBB0_67:                               ;   in Loop: Header=BB0_53 Depth=1
	s_or_b32 exec_lo, exec_lo, s31
	s_waitcnt lgkmcnt(0)
	s_barrier
	buffer_gl0_inv
	s_barrier
	buffer_gl0_inv
	s_and_saveexec_b32 s31, s29
	s_cbranch_execz .LBB0_69
; %bb.68:                               ;   in Loop: Header=BB0_53 Depth=1
	ds_load_b64 v[125:126], v29 offset:17432
	v_mov_b32_e32 v30, v29
	s_waitcnt lgkmcnt(0)
	ds_store_b64 v29, v[125:126] offset:17440
	s_waitcnt lgkmcnt(0)
	buffer_gl0_inv
	ds_store_b64 v29, v[29:30] offset:17432
	s_waitcnt lgkmcnt(0)
	buffer_gl0_inv
	ds_load_2addr_stride64_b64 v[125:128], v53 offset0:33 offset1:34
	s_waitcnt lgkmcnt(0)
	v_add_co_u32 v30, s30, v127, v125
	s_delay_alu instid0(VALU_DEP_1)
	v_add_co_ci_u32_e64 v31, s30, v128, v126, s30
	ds_store_2addr_stride64_b64 v53, v[127:128], v[30:31] offset0:33 offset1:34
.LBB0_69:                               ;   in Loop: Header=BB0_53 Depth=1
	s_or_b32 exec_lo, exec_lo, s31
	s_waitcnt lgkmcnt(0)
	s_barrier
	buffer_gl0_inv
	s_and_saveexec_b32 s31, s28
	s_cbranch_execz .LBB0_71
; %bb.70:                               ;   in Loop: Header=BB0_53 Depth=1
	ds_load_b64 v[30:31], v44 offset:16408
	ds_load_b64 v[125:126], v43 offset:16408
	s_waitcnt lgkmcnt(0)
	v_add_co_u32 v30, s30, v125, v30
	s_delay_alu instid0(VALU_DEP_1)
	v_add_co_ci_u32_e64 v31, s30, v126, v31, s30
	ds_store_b64 v44, v[125:126] offset:16408
	ds_store_b64 v43, v[30:31] offset:16408
.LBB0_71:                               ;   in Loop: Header=BB0_53 Depth=1
	s_or_b32 exec_lo, exec_lo, s31
	s_waitcnt lgkmcnt(0)
	s_barrier
	buffer_gl0_inv
	s_and_saveexec_b32 s31, s27
	s_cbranch_execz .LBB0_73
; %bb.72:                               ;   in Loop: Header=BB0_53 Depth=1
	ds_load_b64 v[30:31], v42 offset:16408
	ds_load_b64 v[125:126], v41 offset:16408
	s_waitcnt lgkmcnt(0)
	v_add_co_u32 v30, s30, v125, v30
	s_delay_alu instid0(VALU_DEP_1)
	v_add_co_ci_u32_e64 v31, s30, v126, v31, s30
	ds_store_b64 v42, v[125:126] offset:16408
	ds_store_b64 v41, v[30:31] offset:16408
.LBB0_73:                               ;   in Loop: Header=BB0_53 Depth=1
	;; [unrolled: 16-line block ×5, first 2 shown]
	s_or_b32 exec_lo, exec_lo, s31
	s_waitcnt lgkmcnt(0)
	s_barrier
	buffer_gl0_inv
	s_and_saveexec_b32 s31, s23
	s_cbranch_execz .LBB0_81
; %bb.80:                               ;   in Loop: Header=BB0_53 Depth=1
	ds_load_b128 v[125:128], v51
	s_waitcnt lgkmcnt(0)
	v_add_co_u32 v129, s30, v127, v125
	s_delay_alu instid0(VALU_DEP_1)
	v_add_co_ci_u32_e64 v130, s30, v128, v126, s30
	ds_store_b128 v51, v[127:130]
.LBB0_81:                               ;   in Loop: Header=BB0_53 Depth=1
	s_or_b32 exec_lo, exec_lo, s31
	s_waitcnt lgkmcnt(0)
	s_barrier
	buffer_gl0_inv
	s_barrier
	buffer_gl0_inv
	ds_load_b64 v[30:31], v29 offset:17440
	s_waitcnt lgkmcnt(0)
	s_barrier
	buffer_gl0_inv
	ds_load_b64 v[125:126], v34
	s_waitcnt lgkmcnt(0)
	ds_store_b64 v33, v[125:126]
	s_and_saveexec_b32 s30, s29
	s_cbranch_execz .LBB0_83
; %bb.82:                               ;   in Loop: Header=BB0_53 Depth=1
	ds_store_b64 v29, v[30:31] offset:16384
.LBB0_83:                               ;   in Loop: Header=BB0_53 Depth=1
	s_or_b32 exec_lo, exec_lo, s30
	ds_load_b64 v[30:31], v33 offset:8
	s_waitcnt lgkmcnt(0)
	ds_store_b64 v34, v[30:31]
	s_waitcnt lgkmcnt(0)
	s_barrier
	buffer_gl0_inv
	s_and_saveexec_b32 s31, s23
	s_cbranch_execz .LBB0_85
; %bb.84:                               ;   in Loop: Header=BB0_53 Depth=1
	ds_load_b128 v[125:128], v51
	s_waitcnt lgkmcnt(0)
	v_add_co_u32 v30, s30, v127, v125
	s_delay_alu instid0(VALU_DEP_1)
	v_add_co_ci_u32_e64 v31, s30, v128, v126, s30
	ds_store_b64 v51, v[30:31] offset:8
.LBB0_85:                               ;   in Loop: Header=BB0_53 Depth=1
	s_or_b32 exec_lo, exec_lo, s31
	s_waitcnt lgkmcnt(0)
	s_barrier
	buffer_gl0_inv
	s_and_saveexec_b32 s31, s24
	s_cbranch_execz .LBB0_87
; %bb.86:                               ;   in Loop: Header=BB0_53 Depth=1
	ds_load_b64 v[30:31], v36 offset:16408
	ds_load_b64 v[125:126], v35 offset:16408
	s_waitcnt lgkmcnt(0)
	v_add_co_u32 v30, s30, v125, v30
	s_delay_alu instid0(VALU_DEP_1)
	v_add_co_ci_u32_e64 v31, s30, v126, v31, s30
	ds_store_b64 v35, v[30:31] offset:16408
.LBB0_87:                               ;   in Loop: Header=BB0_53 Depth=1
	s_or_b32 exec_lo, exec_lo, s31
	s_waitcnt lgkmcnt(0)
	s_barrier
	buffer_gl0_inv
	s_and_saveexec_b32 s31, s25
	s_cbranch_execz .LBB0_89
; %bb.88:                               ;   in Loop: Header=BB0_53 Depth=1
	ds_load_b64 v[30:31], v38 offset:16408
	ds_load_b64 v[125:126], v37 offset:16408
	s_waitcnt lgkmcnt(0)
	v_add_co_u32 v30, s30, v125, v30
	s_delay_alu instid0(VALU_DEP_1)
	v_add_co_ci_u32_e64 v31, s30, v126, v31, s30
	ds_store_b64 v37, v[30:31] offset:16408
.LBB0_89:                               ;   in Loop: Header=BB0_53 Depth=1
	s_or_b32 exec_lo, exec_lo, s31
	s_waitcnt lgkmcnt(0)
	s_barrier
	buffer_gl0_inv
	s_and_saveexec_b32 s31, s26
	s_cbranch_execz .LBB0_91
; %bb.90:                               ;   in Loop: Header=BB0_53 Depth=1
	ds_load_b64 v[30:31], v40 offset:16408
	ds_load_b64 v[125:126], v39 offset:16408
	s_waitcnt lgkmcnt(0)
	v_add_co_u32 v30, s30, v125, v30
	s_delay_alu instid0(VALU_DEP_1)
	v_add_co_ci_u32_e64 v31, s30, v126, v31, s30
	ds_store_b64 v39, v[30:31] offset:16408
.LBB0_91:                               ;   in Loop: Header=BB0_53 Depth=1
	s_or_b32 exec_lo, exec_lo, s31
	s_waitcnt lgkmcnt(0)
	s_barrier
	buffer_gl0_inv
	s_and_saveexec_b32 s31, s27
	s_cbranch_execz .LBB0_93
; %bb.92:                               ;   in Loop: Header=BB0_53 Depth=1
	ds_load_b64 v[30:31], v42 offset:16408
	ds_load_b64 v[125:126], v41 offset:16408
	s_waitcnt lgkmcnt(0)
	v_add_co_u32 v30, s30, v125, v30
	s_delay_alu instid0(VALU_DEP_1)
	v_add_co_ci_u32_e64 v31, s30, v126, v31, s30
	ds_store_b64 v41, v[30:31] offset:16408
.LBB0_93:                               ;   in Loop: Header=BB0_53 Depth=1
	s_or_b32 exec_lo, exec_lo, s31
	s_waitcnt lgkmcnt(0)
	s_barrier
	buffer_gl0_inv
	s_and_saveexec_b32 s31, s28
	s_cbranch_execz .LBB0_95
; %bb.94:                               ;   in Loop: Header=BB0_53 Depth=1
	ds_load_b64 v[30:31], v44 offset:16408
	ds_load_b64 v[125:126], v43 offset:16408
	s_waitcnt lgkmcnt(0)
	v_add_co_u32 v30, s30, v125, v30
	s_delay_alu instid0(VALU_DEP_1)
	v_add_co_ci_u32_e64 v31, s30, v126, v31, s30
	ds_store_b64 v43, v[30:31] offset:16408
.LBB0_95:                               ;   in Loop: Header=BB0_53 Depth=1
	s_or_b32 exec_lo, exec_lo, s31
	s_waitcnt lgkmcnt(0)
	s_barrier
	buffer_gl0_inv
	s_and_saveexec_b32 s31, s29
	s_cbranch_execz .LBB0_97
; %bb.96:                               ;   in Loop: Header=BB0_53 Depth=1
	ds_load_2addr_stride64_b64 v[125:128], v53 offset0:33 offset1:34
	s_waitcnt lgkmcnt(0)
	v_add_co_u32 v30, s30, v127, v125
	s_delay_alu instid0(VALU_DEP_1)
	v_add_co_ci_u32_e64 v31, s30, v128, v126, s30
	ds_store_b64 v29, v[30:31] offset:17432
.LBB0_97:                               ;   in Loop: Header=BB0_53 Depth=1
	s_or_b32 exec_lo, exec_lo, s31
	s_waitcnt lgkmcnt(0)
	s_barrier
	buffer_gl0_inv
	s_barrier
	buffer_gl0_inv
	s_and_saveexec_b32 s31, s29
	s_cbranch_execz .LBB0_99
; %bb.98:                               ;   in Loop: Header=BB0_53 Depth=1
	ds_load_b64 v[125:126], v29 offset:17432
	v_mov_b32_e32 v30, v29
	s_waitcnt lgkmcnt(0)
	ds_store_b64 v29, v[125:126] offset:17440
	s_waitcnt lgkmcnt(0)
	buffer_gl0_inv
	ds_store_b64 v29, v[29:30] offset:17432
	s_waitcnt lgkmcnt(0)
	buffer_gl0_inv
	ds_load_2addr_stride64_b64 v[125:128], v53 offset0:33 offset1:34
	s_waitcnt lgkmcnt(0)
	v_add_co_u32 v30, s30, v127, v125
	s_delay_alu instid0(VALU_DEP_1)
	v_add_co_ci_u32_e64 v31, s30, v128, v126, s30
	ds_store_2addr_stride64_b64 v53, v[127:128], v[30:31] offset0:33 offset1:34
.LBB0_99:                               ;   in Loop: Header=BB0_53 Depth=1
	s_or_b32 exec_lo, exec_lo, s31
	s_waitcnt lgkmcnt(0)
	s_barrier
	buffer_gl0_inv
	s_and_saveexec_b32 s31, s28
	s_cbranch_execz .LBB0_101
; %bb.100:                              ;   in Loop: Header=BB0_53 Depth=1
	ds_load_b64 v[30:31], v44 offset:16408
	ds_load_b64 v[125:126], v43 offset:16408
	s_waitcnt lgkmcnt(0)
	v_add_co_u32 v30, s30, v125, v30
	s_delay_alu instid0(VALU_DEP_1)
	v_add_co_ci_u32_e64 v31, s30, v126, v31, s30
	ds_store_b64 v44, v[125:126] offset:16408
	ds_store_b64 v43, v[30:31] offset:16408
.LBB0_101:                              ;   in Loop: Header=BB0_53 Depth=1
	s_or_b32 exec_lo, exec_lo, s31
	s_waitcnt lgkmcnt(0)
	s_barrier
	buffer_gl0_inv
	s_and_saveexec_b32 s31, s27
	s_cbranch_execz .LBB0_103
; %bb.102:                              ;   in Loop: Header=BB0_53 Depth=1
	ds_load_b64 v[30:31], v42 offset:16408
	ds_load_b64 v[125:126], v41 offset:16408
	s_waitcnt lgkmcnt(0)
	v_add_co_u32 v30, s30, v125, v30
	s_delay_alu instid0(VALU_DEP_1)
	v_add_co_ci_u32_e64 v31, s30, v126, v31, s30
	ds_store_b64 v42, v[125:126] offset:16408
	ds_store_b64 v41, v[30:31] offset:16408
.LBB0_103:                              ;   in Loop: Header=BB0_53 Depth=1
	;; [unrolled: 16-line block ×5, first 2 shown]
	s_or_b32 exec_lo, exec_lo, s31
	s_waitcnt lgkmcnt(0)
	s_barrier
	buffer_gl0_inv
	s_and_saveexec_b32 s31, s23
	s_cbranch_execz .LBB0_111
; %bb.110:                              ;   in Loop: Header=BB0_53 Depth=1
	ds_load_b128 v[125:128], v51
	s_waitcnt lgkmcnt(0)
	v_add_co_u32 v129, s30, v127, v125
	s_delay_alu instid0(VALU_DEP_1)
	v_add_co_ci_u32_e64 v130, s30, v128, v126, s30
	ds_store_b128 v51, v[127:130]
.LBB0_111:                              ;   in Loop: Header=BB0_53 Depth=1
	s_or_b32 exec_lo, exec_lo, s31
	s_waitcnt lgkmcnt(0)
	s_barrier
	buffer_gl0_inv
	s_barrier
	buffer_gl0_inv
	ds_load_b64 v[30:31], v29 offset:17440
	s_waitcnt lgkmcnt(0)
	s_barrier
	buffer_gl0_inv
	ds_load_b64 v[125:126], v34
	s_waitcnt lgkmcnt(0)
	ds_store_b64 v33, v[125:126] offset:8
	s_and_saveexec_b32 s30, s29
	s_cbranch_execz .LBB0_113
; %bb.112:                              ;   in Loop: Header=BB0_53 Depth=1
	ds_store_b64 v29, v[30:31] offset:16392
.LBB0_113:                              ;   in Loop: Header=BB0_53 Depth=1
	s_or_b32 exec_lo, exec_lo, s30
	ds_load_b64 v[30:31], v33 offset:16
	s_waitcnt lgkmcnt(0)
	ds_store_b64 v34, v[30:31]
	s_waitcnt lgkmcnt(0)
	s_barrier
	buffer_gl0_inv
	s_and_saveexec_b32 s31, s23
	s_cbranch_execz .LBB0_115
; %bb.114:                              ;   in Loop: Header=BB0_53 Depth=1
	ds_load_b128 v[125:128], v51
	s_waitcnt lgkmcnt(0)
	v_add_co_u32 v30, s30, v127, v125
	s_delay_alu instid0(VALU_DEP_1)
	v_add_co_ci_u32_e64 v31, s30, v128, v126, s30
	ds_store_b64 v51, v[30:31] offset:8
.LBB0_115:                              ;   in Loop: Header=BB0_53 Depth=1
	s_or_b32 exec_lo, exec_lo, s31
	s_waitcnt lgkmcnt(0)
	s_barrier
	buffer_gl0_inv
	s_and_saveexec_b32 s31, s24
	s_cbranch_execz .LBB0_117
; %bb.116:                              ;   in Loop: Header=BB0_53 Depth=1
	ds_load_b64 v[30:31], v36 offset:16408
	ds_load_b64 v[125:126], v35 offset:16408
	s_waitcnt lgkmcnt(0)
	v_add_co_u32 v30, s30, v125, v30
	s_delay_alu instid0(VALU_DEP_1)
	v_add_co_ci_u32_e64 v31, s30, v126, v31, s30
	ds_store_b64 v35, v[30:31] offset:16408
.LBB0_117:                              ;   in Loop: Header=BB0_53 Depth=1
	s_or_b32 exec_lo, exec_lo, s31
	s_waitcnt lgkmcnt(0)
	s_barrier
	buffer_gl0_inv
	s_and_saveexec_b32 s31, s25
	s_cbranch_execz .LBB0_119
; %bb.118:                              ;   in Loop: Header=BB0_53 Depth=1
	ds_load_b64 v[30:31], v38 offset:16408
	ds_load_b64 v[125:126], v37 offset:16408
	s_waitcnt lgkmcnt(0)
	v_add_co_u32 v30, s30, v125, v30
	s_delay_alu instid0(VALU_DEP_1)
	v_add_co_ci_u32_e64 v31, s30, v126, v31, s30
	ds_store_b64 v37, v[30:31] offset:16408
.LBB0_119:                              ;   in Loop: Header=BB0_53 Depth=1
	;; [unrolled: 15-line block ×5, first 2 shown]
	s_or_b32 exec_lo, exec_lo, s31
	s_waitcnt lgkmcnt(0)
	s_barrier
	buffer_gl0_inv
	s_and_saveexec_b32 s31, s29
	s_cbranch_execz .LBB0_127
; %bb.126:                              ;   in Loop: Header=BB0_53 Depth=1
	ds_load_2addr_stride64_b64 v[125:128], v53 offset0:33 offset1:34
	s_waitcnt lgkmcnt(0)
	v_add_co_u32 v30, s30, v127, v125
	s_delay_alu instid0(VALU_DEP_1)
	v_add_co_ci_u32_e64 v31, s30, v128, v126, s30
	ds_store_b64 v29, v[30:31] offset:17432
.LBB0_127:                              ;   in Loop: Header=BB0_53 Depth=1
	s_or_b32 exec_lo, exec_lo, s31
	s_waitcnt lgkmcnt(0)
	s_barrier
	buffer_gl0_inv
	s_barrier
	buffer_gl0_inv
	s_and_saveexec_b32 s31, s29
	s_cbranch_execz .LBB0_129
; %bb.128:                              ;   in Loop: Header=BB0_53 Depth=1
	ds_load_b64 v[125:126], v29 offset:17432
	v_mov_b32_e32 v30, v29
	s_waitcnt lgkmcnt(0)
	ds_store_b64 v29, v[125:126] offset:17440
	s_waitcnt lgkmcnt(0)
	buffer_gl0_inv
	ds_store_b64 v29, v[29:30] offset:17432
	s_waitcnt lgkmcnt(0)
	buffer_gl0_inv
	ds_load_2addr_stride64_b64 v[125:128], v53 offset0:33 offset1:34
	s_waitcnt lgkmcnt(0)
	v_add_co_u32 v30, s30, v127, v125
	s_delay_alu instid0(VALU_DEP_1)
	v_add_co_ci_u32_e64 v31, s30, v128, v126, s30
	ds_store_2addr_stride64_b64 v53, v[127:128], v[30:31] offset0:33 offset1:34
.LBB0_129:                              ;   in Loop: Header=BB0_53 Depth=1
	s_or_b32 exec_lo, exec_lo, s31
	s_waitcnt lgkmcnt(0)
	s_barrier
	buffer_gl0_inv
	s_and_saveexec_b32 s31, s28
	s_cbranch_execz .LBB0_131
; %bb.130:                              ;   in Loop: Header=BB0_53 Depth=1
	ds_load_b64 v[30:31], v44 offset:16408
	ds_load_b64 v[125:126], v43 offset:16408
	s_waitcnt lgkmcnt(0)
	v_add_co_u32 v30, s30, v125, v30
	s_delay_alu instid0(VALU_DEP_1)
	v_add_co_ci_u32_e64 v31, s30, v126, v31, s30
	ds_store_b64 v44, v[125:126] offset:16408
	ds_store_b64 v43, v[30:31] offset:16408
.LBB0_131:                              ;   in Loop: Header=BB0_53 Depth=1
	s_or_b32 exec_lo, exec_lo, s31
	s_waitcnt lgkmcnt(0)
	s_barrier
	buffer_gl0_inv
	s_and_saveexec_b32 s31, s27
	s_cbranch_execz .LBB0_133
; %bb.132:                              ;   in Loop: Header=BB0_53 Depth=1
	ds_load_b64 v[30:31], v42 offset:16408
	ds_load_b64 v[125:126], v41 offset:16408
	s_waitcnt lgkmcnt(0)
	v_add_co_u32 v30, s30, v125, v30
	s_delay_alu instid0(VALU_DEP_1)
	v_add_co_ci_u32_e64 v31, s30, v126, v31, s30
	ds_store_b64 v42, v[125:126] offset:16408
	ds_store_b64 v41, v[30:31] offset:16408
.LBB0_133:                              ;   in Loop: Header=BB0_53 Depth=1
	s_or_b32 exec_lo, exec_lo, s31
	s_waitcnt lgkmcnt(0)
	s_barrier
	buffer_gl0_inv
	s_and_saveexec_b32 s31, s26
	s_cbranch_execz .LBB0_135
; %bb.134:                              ;   in Loop: Header=BB0_53 Depth=1
	ds_load_b64 v[30:31], v40 offset:16408
	ds_load_b64 v[125:126], v39 offset:16408
	s_waitcnt lgkmcnt(0)
	v_add_co_u32 v30, s30, v125, v30
	s_delay_alu instid0(VALU_DEP_1)
	v_add_co_ci_u32_e64 v31, s30, v126, v31, s30
	ds_store_b64 v40, v[125:126] offset:16408
	ds_store_b64 v39, v[30:31] offset:16408
.LBB0_135:                              ;   in Loop: Header=BB0_53 Depth=1
	s_or_b32 exec_lo, exec_lo, s31
	s_waitcnt lgkmcnt(0)
	s_barrier
	buffer_gl0_inv
	s_and_saveexec_b32 s31, s25
	s_cbranch_execz .LBB0_137
; %bb.136:                              ;   in Loop: Header=BB0_53 Depth=1
	ds_load_b64 v[30:31], v38 offset:16408
	ds_load_b64 v[125:126], v37 offset:16408
	s_waitcnt lgkmcnt(0)
	v_add_co_u32 v30, s30, v125, v30
	s_delay_alu instid0(VALU_DEP_1)
	v_add_co_ci_u32_e64 v31, s30, v126, v31, s30
	ds_store_b64 v38, v[125:126] offset:16408
	ds_store_b64 v37, v[30:31] offset:16408
.LBB0_137:                              ;   in Loop: Header=BB0_53 Depth=1
	s_or_b32 exec_lo, exec_lo, s31
	s_waitcnt lgkmcnt(0)
	s_barrier
	buffer_gl0_inv
	s_and_saveexec_b32 s31, s24
	s_cbranch_execz .LBB0_139
; %bb.138:                              ;   in Loop: Header=BB0_53 Depth=1
	ds_load_b64 v[30:31], v36 offset:16408
	ds_load_b64 v[125:126], v35 offset:16408
	s_waitcnt lgkmcnt(0)
	v_add_co_u32 v30, s30, v125, v30
	s_delay_alu instid0(VALU_DEP_1)
	v_add_co_ci_u32_e64 v31, s30, v126, v31, s30
	ds_store_b64 v36, v[125:126] offset:16408
	ds_store_b64 v35, v[30:31] offset:16408
.LBB0_139:                              ;   in Loop: Header=BB0_53 Depth=1
	s_or_b32 exec_lo, exec_lo, s31
	s_waitcnt lgkmcnt(0)
	s_barrier
	buffer_gl0_inv
	s_and_saveexec_b32 s31, s23
	s_cbranch_execz .LBB0_141
; %bb.140:                              ;   in Loop: Header=BB0_53 Depth=1
	ds_load_b128 v[125:128], v51
	s_waitcnt lgkmcnt(0)
	v_add_co_u32 v129, s30, v127, v125
	s_delay_alu instid0(VALU_DEP_1)
	v_add_co_ci_u32_e64 v130, s30, v128, v126, s30
	ds_store_b128 v51, v[127:130]
.LBB0_141:                              ;   in Loop: Header=BB0_53 Depth=1
	s_or_b32 exec_lo, exec_lo, s31
	s_waitcnt lgkmcnt(0)
	s_barrier
	buffer_gl0_inv
	s_barrier
	buffer_gl0_inv
	ds_load_b64 v[30:31], v29 offset:17440
	s_waitcnt lgkmcnt(0)
	s_barrier
	buffer_gl0_inv
	ds_load_b64 v[125:126], v34
	s_waitcnt lgkmcnt(0)
	ds_store_b64 v33, v[125:126] offset:16
	s_and_saveexec_b32 s30, s29
	s_cbranch_execz .LBB0_143
; %bb.142:                              ;   in Loop: Header=BB0_53 Depth=1
	ds_store_b64 v29, v[30:31] offset:16400
.LBB0_143:                              ;   in Loop: Header=BB0_53 Depth=1
	s_or_b32 exec_lo, exec_lo, s30
	ds_load_b64 v[30:31], v33 offset:24
	s_waitcnt lgkmcnt(0)
	ds_store_b64 v34, v[30:31]
	s_waitcnt lgkmcnt(0)
	s_barrier
	buffer_gl0_inv
	s_and_saveexec_b32 s31, s23
	s_cbranch_execz .LBB0_145
; %bb.144:                              ;   in Loop: Header=BB0_53 Depth=1
	ds_load_b128 v[125:128], v51
	s_waitcnt lgkmcnt(0)
	v_add_co_u32 v30, s30, v127, v125
	s_delay_alu instid0(VALU_DEP_1)
	v_add_co_ci_u32_e64 v31, s30, v128, v126, s30
	ds_store_b64 v51, v[30:31] offset:8
.LBB0_145:                              ;   in Loop: Header=BB0_53 Depth=1
	s_or_b32 exec_lo, exec_lo, s31
	s_waitcnt lgkmcnt(0)
	s_barrier
	buffer_gl0_inv
	s_and_saveexec_b32 s31, s24
	s_cbranch_execz .LBB0_147
; %bb.146:                              ;   in Loop: Header=BB0_53 Depth=1
	ds_load_b64 v[30:31], v36 offset:16408
	ds_load_b64 v[125:126], v35 offset:16408
	s_waitcnt lgkmcnt(0)
	v_add_co_u32 v30, s30, v125, v30
	s_delay_alu instid0(VALU_DEP_1)
	v_add_co_ci_u32_e64 v31, s30, v126, v31, s30
	ds_store_b64 v35, v[30:31] offset:16408
.LBB0_147:                              ;   in Loop: Header=BB0_53 Depth=1
	s_or_b32 exec_lo, exec_lo, s31
	s_waitcnt lgkmcnt(0)
	s_barrier
	buffer_gl0_inv
	s_and_saveexec_b32 s31, s25
	s_cbranch_execz .LBB0_149
; %bb.148:                              ;   in Loop: Header=BB0_53 Depth=1
	ds_load_b64 v[30:31], v38 offset:16408
	ds_load_b64 v[125:126], v37 offset:16408
	s_waitcnt lgkmcnt(0)
	v_add_co_u32 v30, s30, v125, v30
	s_delay_alu instid0(VALU_DEP_1)
	v_add_co_ci_u32_e64 v31, s30, v126, v31, s30
	ds_store_b64 v37, v[30:31] offset:16408
.LBB0_149:                              ;   in Loop: Header=BB0_53 Depth=1
	;; [unrolled: 15-line block ×5, first 2 shown]
	s_or_b32 exec_lo, exec_lo, s31
	s_waitcnt lgkmcnt(0)
	s_barrier
	buffer_gl0_inv
	s_and_saveexec_b32 s31, s29
	s_cbranch_execz .LBB0_157
; %bb.156:                              ;   in Loop: Header=BB0_53 Depth=1
	ds_load_2addr_stride64_b64 v[125:128], v53 offset0:33 offset1:34
	s_waitcnt lgkmcnt(0)
	v_add_co_u32 v30, s30, v127, v125
	s_delay_alu instid0(VALU_DEP_1)
	v_add_co_ci_u32_e64 v31, s30, v128, v126, s30
	ds_store_b64 v29, v[30:31] offset:17432
.LBB0_157:                              ;   in Loop: Header=BB0_53 Depth=1
	s_or_b32 exec_lo, exec_lo, s31
	s_waitcnt lgkmcnt(0)
	s_barrier
	buffer_gl0_inv
	s_barrier
	buffer_gl0_inv
	s_and_saveexec_b32 s31, s29
	s_cbranch_execz .LBB0_159
; %bb.158:                              ;   in Loop: Header=BB0_53 Depth=1
	ds_load_b64 v[125:126], v29 offset:17432
	v_mov_b32_e32 v30, v29
	s_waitcnt lgkmcnt(0)
	ds_store_b64 v29, v[125:126] offset:17440
	s_waitcnt lgkmcnt(0)
	buffer_gl0_inv
	ds_store_b64 v29, v[29:30] offset:17432
	s_waitcnt lgkmcnt(0)
	buffer_gl0_inv
	ds_load_2addr_stride64_b64 v[125:128], v53 offset0:33 offset1:34
	s_waitcnt lgkmcnt(0)
	v_add_co_u32 v30, s30, v127, v125
	s_delay_alu instid0(VALU_DEP_1)
	v_add_co_ci_u32_e64 v31, s30, v128, v126, s30
	ds_store_2addr_stride64_b64 v53, v[127:128], v[30:31] offset0:33 offset1:34
.LBB0_159:                              ;   in Loop: Header=BB0_53 Depth=1
	s_or_b32 exec_lo, exec_lo, s31
	s_waitcnt lgkmcnt(0)
	s_barrier
	buffer_gl0_inv
	s_and_saveexec_b32 s31, s28
	s_cbranch_execz .LBB0_161
; %bb.160:                              ;   in Loop: Header=BB0_53 Depth=1
	ds_load_b64 v[30:31], v44 offset:16408
	ds_load_b64 v[125:126], v43 offset:16408
	s_waitcnt lgkmcnt(0)
	v_add_co_u32 v30, s30, v125, v30
	s_delay_alu instid0(VALU_DEP_1)
	v_add_co_ci_u32_e64 v31, s30, v126, v31, s30
	ds_store_b64 v44, v[125:126] offset:16408
	ds_store_b64 v43, v[30:31] offset:16408
.LBB0_161:                              ;   in Loop: Header=BB0_53 Depth=1
	s_or_b32 exec_lo, exec_lo, s31
	s_waitcnt lgkmcnt(0)
	s_barrier
	buffer_gl0_inv
	s_and_saveexec_b32 s31, s27
	s_cbranch_execz .LBB0_163
; %bb.162:                              ;   in Loop: Header=BB0_53 Depth=1
	ds_load_b64 v[30:31], v42 offset:16408
	ds_load_b64 v[125:126], v41 offset:16408
	s_waitcnt lgkmcnt(0)
	v_add_co_u32 v30, s30, v125, v30
	s_delay_alu instid0(VALU_DEP_1)
	v_add_co_ci_u32_e64 v31, s30, v126, v31, s30
	ds_store_b64 v42, v[125:126] offset:16408
	ds_store_b64 v41, v[30:31] offset:16408
.LBB0_163:                              ;   in Loop: Header=BB0_53 Depth=1
	s_or_b32 exec_lo, exec_lo, s31
	s_waitcnt lgkmcnt(0)
	s_barrier
	buffer_gl0_inv
	s_and_saveexec_b32 s31, s26
	s_cbranch_execz .LBB0_165
; %bb.164:                              ;   in Loop: Header=BB0_53 Depth=1
	ds_load_b64 v[30:31], v40 offset:16408
	ds_load_b64 v[125:126], v39 offset:16408
	s_waitcnt lgkmcnt(0)
	v_add_co_u32 v30, s30, v125, v30
	s_delay_alu instid0(VALU_DEP_1)
	v_add_co_ci_u32_e64 v31, s30, v126, v31, s30
	ds_store_b64 v40, v[125:126] offset:16408
	ds_store_b64 v39, v[30:31] offset:16408
.LBB0_165:                              ;   in Loop: Header=BB0_53 Depth=1
	s_or_b32 exec_lo, exec_lo, s31
	s_waitcnt lgkmcnt(0)
	s_barrier
	buffer_gl0_inv
	s_and_saveexec_b32 s31, s25
	s_cbranch_execz .LBB0_167
; %bb.166:                              ;   in Loop: Header=BB0_53 Depth=1
	ds_load_b64 v[30:31], v38 offset:16408
	ds_load_b64 v[125:126], v37 offset:16408
	s_waitcnt lgkmcnt(0)
	v_add_co_u32 v30, s30, v125, v30
	s_delay_alu instid0(VALU_DEP_1)
	v_add_co_ci_u32_e64 v31, s30, v126, v31, s30
	ds_store_b64 v38, v[125:126] offset:16408
	ds_store_b64 v37, v[30:31] offset:16408
.LBB0_167:                              ;   in Loop: Header=BB0_53 Depth=1
	s_or_b32 exec_lo, exec_lo, s31
	s_waitcnt lgkmcnt(0)
	s_barrier
	buffer_gl0_inv
	s_and_saveexec_b32 s31, s24
	s_cbranch_execz .LBB0_169
; %bb.168:                              ;   in Loop: Header=BB0_53 Depth=1
	ds_load_b64 v[30:31], v36 offset:16408
	ds_load_b64 v[125:126], v35 offset:16408
	s_waitcnt lgkmcnt(0)
	v_add_co_u32 v30, s30, v125, v30
	s_delay_alu instid0(VALU_DEP_1)
	v_add_co_ci_u32_e64 v31, s30, v126, v31, s30
	ds_store_b64 v36, v[125:126] offset:16408
	ds_store_b64 v35, v[30:31] offset:16408
.LBB0_169:                              ;   in Loop: Header=BB0_53 Depth=1
	s_or_b32 exec_lo, exec_lo, s31
	s_waitcnt lgkmcnt(0)
	s_barrier
	buffer_gl0_inv
	s_and_saveexec_b32 s31, s23
	s_cbranch_execz .LBB0_171
; %bb.170:                              ;   in Loop: Header=BB0_53 Depth=1
	ds_load_b128 v[125:128], v51
	s_waitcnt lgkmcnt(0)
	v_add_co_u32 v129, s30, v127, v125
	s_delay_alu instid0(VALU_DEP_1)
	v_add_co_ci_u32_e64 v130, s30, v128, v126, s30
	ds_store_b128 v51, v[127:130]
.LBB0_171:                              ;   in Loop: Header=BB0_53 Depth=1
	s_or_b32 exec_lo, exec_lo, s31
	s_waitcnt lgkmcnt(0)
	s_barrier
	buffer_gl0_inv
	s_barrier
	buffer_gl0_inv
	ds_load_b64 v[30:31], v29 offset:17440
	s_waitcnt lgkmcnt(0)
	s_barrier
	buffer_gl0_inv
	ds_load_b64 v[125:126], v34
	s_waitcnt lgkmcnt(0)
	ds_store_b64 v33, v[125:126] offset:24
	s_and_saveexec_b32 s30, s29
	s_cbranch_execz .LBB0_173
; %bb.172:                              ;   in Loop: Header=BB0_53 Depth=1
	ds_store_b64 v29, v[30:31] offset:16408
.LBB0_173:                              ;   in Loop: Header=BB0_53 Depth=1
	s_or_b32 exec_lo, exec_lo, s30
	s_waitcnt lgkmcnt(0)
	s_barrier
	buffer_gl0_inv
	s_and_saveexec_b32 s30, s26
	s_delay_alu instid0(SALU_CYCLE_1)
	s_xor_b32 s30, exec_lo, s30
	s_cbranch_execz .LBB0_175
; %bb.174:                              ;   in Loop: Header=BB0_53 Depth=1
	ds_load_u16 v30, v52 offset:4096
	ds_load_u16 v31, v45 offset:2
	s_waitcnt lgkmcnt(0)
	v_add_nc_u16 v30, v31, v30
	ds_store_b16 v45, v30 offset:2
.LBB0_175:                              ;   in Loop: Header=BB0_53 Depth=1
	s_or_b32 exec_lo, exec_lo, s30
	s_waitcnt lgkmcnt(0)
	s_barrier
	buffer_gl0_inv
	s_and_saveexec_b32 s30, s27
	s_cbranch_execz .LBB0_177
; %bb.176:                              ;   in Loop: Header=BB0_53 Depth=1
	ds_load_u16 v30, v46 offset:16382
	ds_load_u16 v31, v47 offset:16382
	s_waitcnt lgkmcnt(0)
	v_add_nc_u16 v30, v31, v30
	ds_store_b16 v47, v30 offset:16382
.LBB0_177:                              ;   in Loop: Header=BB0_53 Depth=1
	s_or_b32 exec_lo, exec_lo, s30
	s_waitcnt lgkmcnt(0)
	s_barrier
	buffer_gl0_inv
	s_and_saveexec_b32 s30, s28
	;; [unrolled: 13-line block ×3, first 2 shown]
	s_cbranch_execz .LBB0_181
; %bb.180:                              ;   in Loop: Header=BB0_53 Depth=1
	ds_load_u16 v30, v29 offset:16398
	ds_load_u16 v31, v29 offset:16414
	s_waitcnt lgkmcnt(0)
	v_add_nc_u32_e32 v30, v31, v30
	ds_store_b16 v29, v30 offset:16414
.LBB0_181:                              ;   in Loop: Header=BB0_53 Depth=1
	s_or_b32 exec_lo, exec_lo, s30
	s_waitcnt lgkmcnt(0)
	s_barrier
	buffer_gl0_inv
	s_barrier
	buffer_gl0_inv
	s_and_saveexec_b32 s30, s29
	s_cbranch_execz .LBB0_183
; %bb.182:                              ;   in Loop: Header=BB0_53 Depth=1
	ds_load_u16 v30, v29 offset:16414
	s_waitcnt lgkmcnt(0)
	ds_store_b16 v29, v30 offset:17448
	s_waitcnt lgkmcnt(0)
	buffer_gl0_inv
	ds_store_b16 v29, v29 offset:16414
	s_waitcnt lgkmcnt(0)
	buffer_gl0_inv
	ds_load_u16 v30, v29 offset:16398
	ds_load_u16 v31, v29 offset:16414
	s_waitcnt lgkmcnt(0)
	v_add_nc_u32_e32 v30, v31, v30
	ds_store_b16 v29, v31 offset:16398
	ds_store_b16 v29, v30 offset:16414
.LBB0_183:                              ;   in Loop: Header=BB0_53 Depth=1
	s_or_b32 exec_lo, exec_lo, s30
	s_waitcnt lgkmcnt(0)
	s_barrier
	buffer_gl0_inv
	s_and_saveexec_b32 s30, s28
	s_cbranch_execz .LBB0_185
; %bb.184:                              ;   in Loop: Header=BB0_53 Depth=1
	ds_load_u16 v30, v48 offset:16382
	ds_load_u16 v31, v49 offset:16382
	s_waitcnt lgkmcnt(0)
	v_add_nc_u16 v30, v31, v30
	ds_store_b16 v48, v31 offset:16382
	ds_store_b16 v49, v30 offset:16382
.LBB0_185:                              ;   in Loop: Header=BB0_53 Depth=1
	s_or_b32 exec_lo, exec_lo, s30
	s_waitcnt lgkmcnt(0)
	s_barrier
	buffer_gl0_inv
	s_and_saveexec_b32 s30, s27
	s_cbranch_execz .LBB0_187
; %bb.186:                              ;   in Loop: Header=BB0_53 Depth=1
	ds_load_u16 v30, v46 offset:16382
	ds_load_u16 v31, v47 offset:16382
	s_waitcnt lgkmcnt(0)
	v_add_nc_u16 v30, v31, v30
	ds_store_b16 v46, v31 offset:16382
	ds_store_b16 v47, v30 offset:16382
.LBB0_187:                              ;   in Loop: Header=BB0_53 Depth=1
	;; [unrolled: 14-line block ×3, first 2 shown]
	s_or_b32 exec_lo, exec_lo, s30
	s_waitcnt lgkmcnt(0)
	s_barrier
	buffer_gl0_inv
	s_barrier
	buffer_gl0_inv
	;; [unrolled: 2-line block ×3, first 2 shown]
	ds_load_u16 v30, v116
	v_lshl_or_b32 v31, v122, 3, v124
	s_add_i32 s31, s41, 4
	ds_load_u16 v31, v31 offset:16384
	s_waitcnt lgkmcnt(1)
	v_and_b32_e32 v122, 0xffff, v30
	v_add_nc_u16 v30, v30, 1
	s_delay_alu instid0(VALU_DEP_2)
	v_lshlrev_b32_e32 v122, 2, v122
	ds_store_b16 v116, v30
	ds_load_u16 v30, v114
	v_lshl_or_b32 v116, v121, 3, v123
	s_waitcnt lgkmcnt(2)
	v_lshl_add_u32 v31, v31, 2, v122
	ds_load_u16 v116, v116 offset:16384
	s_waitcnt lgkmcnt(1)
	v_and_b32_e32 v121, 0xffff, v30
	v_add_nc_u16 v30, v30, 1
	ds_store_b32 v31, v21
	v_lshl_or_b32 v31, v119, 3, v120
	v_lshlrev_b32_e32 v121, 2, v121
	ds_store_b16 v114, v30
	ds_load_u16 v30, v111
	ds_load_u16 v31, v31 offset:16384
	s_waitcnt lgkmcnt(4)
	v_lshl_add_u32 v21, v116, 2, v121
	s_waitcnt lgkmcnt(1)
	v_and_b32_e32 v114, 0xffff, v30
	v_add_nc_u16 v30, v30, 1
	ds_store_b32 v21, v22
	v_lshlrev_b32_e32 v114, 2, v114
	ds_store_b16 v111, v30
	ds_load_u16 v22, v108
	v_lshl_or_b32 v30, v117, 3, v118
	s_waitcnt lgkmcnt(3)
	v_lshl_add_u32 v21, v31, 2, v114
	ds_load_u16 v30, v30 offset:16384
	s_waitcnt lgkmcnt(1)
	v_and_b32_e32 v31, 0xffff, v22
	v_add_nc_u16 v22, v22, 1
	ds_store_b32 v21, v23
	v_lshl_or_b32 v23, v113, 3, v115
	v_lshlrev_b32_e32 v31, 2, v31
	ds_store_b16 v108, v22
	ds_load_u16 v22, v105
	ds_load_u16 v23, v23 offset:16384
	s_waitcnt lgkmcnt(4)
	v_lshl_add_u32 v21, v30, 2, v31
	s_waitcnt lgkmcnt(1)
	v_and_b32_e32 v30, 0xffff, v22
	v_add_nc_u16 v22, v22, 1
	ds_store_b32 v21, v24
	v_lshlrev_b32_e32 v30, 2, v30
	ds_store_b16 v105, v22
	ds_load_u16 v22, v102
	s_waitcnt lgkmcnt(3)
	v_lshl_add_u32 v21, v23, 2, v30
	v_lshl_or_b32 v23, v110, 3, v112
	ds_load_u16 v23, v23 offset:16384
	s_waitcnt lgkmcnt(1)
	v_and_b32_e32 v24, 0xffff, v22
	v_add_nc_u16 v22, v22, 1
	ds_store_b32 v21, v17
	v_lshlrev_b32_e32 v24, 2, v24
	ds_store_b16 v102, v22
	ds_load_u16 v21, v99
	v_lshl_or_b32 v22, v107, 3, v109
	s_waitcnt lgkmcnt(3)
	v_lshl_add_u32 v17, v23, 2, v24
	ds_load_u16 v22, v22 offset:16384
	s_waitcnt lgkmcnt(1)
	v_and_b32_e32 v23, 0xffff, v21
	v_add_nc_u16 v21, v21, 1
	ds_store_b32 v17, v18
	v_lshlrev_b32_e32 v23, 2, v23
	ds_store_b16 v99, v21
	ds_load_u16 v18, v96
	v_lshl_or_b32 v21, v104, 3, v106
	s_waitcnt lgkmcnt(3)
	v_lshl_add_u32 v17, v22, 2, v23
	ds_load_u16 v21, v21 offset:16384
	s_waitcnt lgkmcnt(1)
	v_and_b32_e32 v22, 0xffff, v18
	v_add_nc_u16 v18, v18, 1
	ds_store_b32 v17, v19
	v_lshl_or_b32 v19, v101, 3, v103
	v_lshlrev_b32_e32 v22, 2, v22
	ds_store_b16 v96, v18
	ds_load_u16 v18, v93
	ds_load_u16 v19, v19 offset:16384
	s_waitcnt lgkmcnt(4)
	v_lshl_add_u32 v17, v21, 2, v22
	s_waitcnt lgkmcnt(1)
	v_and_b32_e32 v21, 0xffff, v18
	v_add_nc_u16 v18, v18, 1
	ds_store_b32 v17, v20
	v_lshlrev_b32_e32 v21, 2, v21
	ds_store_b16 v93, v18
	ds_load_u16 v18, v90
	s_waitcnt lgkmcnt(3)
	v_lshl_add_u32 v17, v19, 2, v21
	v_lshl_or_b32 v19, v98, 3, v100
	ds_load_u16 v19, v19 offset:16384
	s_waitcnt lgkmcnt(1)
	v_and_b32_e32 v20, 0xffff, v18
	v_add_nc_u16 v18, v18, 1
	ds_store_b32 v17, v13
	v_lshlrev_b32_e32 v20, 2, v20
	ds_store_b16 v90, v18
	ds_load_u16 v17, v87
	v_lshl_or_b32 v18, v95, 3, v97
	s_waitcnt lgkmcnt(3)
	v_lshl_add_u32 v13, v19, 2, v20
	ds_load_u16 v18, v18 offset:16384
	;; [unrolled: 44-line block ×5, first 2 shown]
	s_waitcnt lgkmcnt(1)
	v_and_b32_e32 v7, 0xffff, v5
	v_add_nc_u16 v5, v5, 1
	ds_store_b32 v1, v2
	v_lshlrev_b32_e32 v7, 2, v7
	ds_store_b16 v54, v5
	ds_load_u16 v2, v0
	v_lshl_or_b32 v5, v56, 3, v58
	s_waitcnt lgkmcnt(3)
	v_lshl_add_u32 v1, v6, 2, v7
	ds_load_u16 v5, v5 offset:16384
	s_waitcnt lgkmcnt(1)
	v_and_b32_e32 v6, 0xffff, v2
	v_add_nc_u16 v2, v2, 1
	s_delay_alu instid0(VALU_DEP_2) | instskip(SKIP_1) | instid1(VALU_DEP_1)
	v_lshlrev_b32_e32 v6, 2, v6
	s_waitcnt lgkmcnt(0)
	v_lshl_add_u32 v5, v5, 2, v6
	ds_store_b32 v1, v3
	ds_store_b16 v0, v2
	ds_store_b32 v5, v4
	s_waitcnt lgkmcnt(0)
	s_barrier
	buffer_gl0_inv
	ds_load_b128 v[20:23], v50
	ds_load_b128 v[8:11], v50 offset:16
	v_dual_mov_b32 v2, s36 :: v_dual_mov_b32 v3, s37
	s_waitcnt lgkmcnt(1)
	v_ashrrev_i32_e32 v0, s31, v20
	s_delay_alu instid0(VALU_DEP_1) | instskip(SKIP_1) | instid1(VALU_DEP_2)
	v_and_b32_e32 v1, 3, v0
	v_bfe_u32 v120, v0, 2, 2
	v_lshlrev_b32_e32 v123, 1, v1
	s_delay_alu instid0(VALU_DEP_2)
	v_lshlrev_b32_e32 v4, 3, v120
	v_dual_mov_b32 v0, s34 :: v_dual_mov_b32 v1, s35
	ds_store_2addr_b64 v33, v[0:1], v[2:3] offset1:1
	ds_store_2addr_b64 v33, v[0:1], v[2:3] offset0:2 offset1:3
	v_or3_b32 v116, v33, v4, v123
	v_ashrrev_i32_e32 v1, s31, v21
	ds_load_b128 v[16:19], v50 offset:32
	ds_load_u16 v0, v116
	v_and_b32_e32 v2, 3, v1
	v_bfe_u32 v122, v1, 2, 2
	s_delay_alu instid0(VALU_DEP_2) | instskip(NEXT) | instid1(VALU_DEP_2)
	v_lshlrev_b32_e32 v124, 1, v2
	v_lshlrev_b32_e32 v1, 3, v122
	s_delay_alu instid0(VALU_DEP_1) | instskip(SKIP_1) | instid1(VALU_DEP_1)
	v_or3_b32 v114, v33, v1, v124
	v_ashrrev_i32_e32 v1, s31, v22
	v_and_b32_e32 v2, 3, v1
	v_bfe_u32 v119, v1, 2, 2
	s_waitcnt lgkmcnt(0)
	v_add_nc_u16 v0, v0, 1
	s_delay_alu instid0(VALU_DEP_3) | instskip(NEXT) | instid1(VALU_DEP_3)
	v_lshlrev_b32_e32 v121, 1, v2
	v_lshlrev_b32_e32 v1, 3, v119
	ds_store_b16 v116, v0
	ds_load_u16 v0, v114
	v_or3_b32 v111, v33, v1, v121
	v_ashrrev_i32_e32 v1, s31, v23
	s_delay_alu instid0(VALU_DEP_1) | instskip(SKIP_1) | instid1(VALU_DEP_2)
	v_and_b32_e32 v2, 3, v1
	v_bfe_u32 v117, v1, 2, 2
	v_lshlrev_b32_e32 v118, 1, v2
	s_delay_alu instid0(VALU_DEP_2) | instskip(SKIP_2) | instid1(VALU_DEP_2)
	v_lshlrev_b32_e32 v1, 3, v117
	s_waitcnt lgkmcnt(0)
	v_add_nc_u16 v0, v0, 1
	v_or3_b32 v108, v33, v1, v118
	v_ashrrev_i32_e32 v1, s31, v8
	ds_store_b16 v114, v0
	ds_load_u16 v0, v111
	v_and_b32_e32 v2, 3, v1
	v_bfe_u32 v113, v1, 2, 2
	s_delay_alu instid0(VALU_DEP_2) | instskip(NEXT) | instid1(VALU_DEP_2)
	v_lshlrev_b32_e32 v115, 1, v2
	v_lshlrev_b32_e32 v1, 3, v113
	s_delay_alu instid0(VALU_DEP_1) | instskip(SKIP_1) | instid1(VALU_DEP_1)
	v_or3_b32 v105, v33, v1, v115
	v_ashrrev_i32_e32 v1, s31, v9
	v_and_b32_e32 v2, 3, v1
	v_bfe_u32 v110, v1, 2, 2
	s_waitcnt lgkmcnt(0)
	v_add_nc_u16 v0, v0, 1
	s_delay_alu instid0(VALU_DEP_3) | instskip(NEXT) | instid1(VALU_DEP_3)
	v_lshlrev_b32_e32 v112, 1, v2
	v_lshlrev_b32_e32 v1, 3, v110
	ds_store_b16 v111, v0
	ds_load_u16 v0, v108
	v_or3_b32 v102, v33, v1, v112
	v_ashrrev_i32_e32 v1, s31, v10
	s_delay_alu instid0(VALU_DEP_1) | instskip(SKIP_1) | instid1(VALU_DEP_2)
	v_and_b32_e32 v2, 3, v1
	v_bfe_u32 v107, v1, 2, 2
	v_lshlrev_b32_e32 v109, 1, v2
	s_delay_alu instid0(VALU_DEP_2) | instskip(SKIP_2) | instid1(VALU_DEP_2)
	v_lshlrev_b32_e32 v1, 3, v107
	s_waitcnt lgkmcnt(0)
	v_add_nc_u16 v0, v0, 1
	v_or3_b32 v98, v33, v1, v109
	v_ashrrev_i32_e32 v1, s31, v11
	ds_store_b16 v108, v0
	ds_load_u16 v0, v105
	v_bfe_u32 v100, v1, 2, 2
	v_and_b32_e32 v1, 3, v1
	s_delay_alu instid0(VALU_DEP_1) | instskip(NEXT) | instid1(VALU_DEP_3)
	v_lshlrev_b32_e32 v106, 1, v1
	v_lshlrev_b32_e32 v1, 3, v100
	s_delay_alu instid0(VALU_DEP_1) | instskip(SKIP_1) | instid1(VALU_DEP_1)
	v_or3_b32 v95, v33, v1, v106
	v_ashrrev_i32_e32 v1, s31, v16
	v_and_b32_e32 v2, 3, v1
	s_waitcnt lgkmcnt(0)
	v_add_nc_u16 v0, v0, 1
	v_bfe_u32 v103, v1, 2, 2
	s_delay_alu instid0(VALU_DEP_3) | instskip(SKIP_3) | instid1(VALU_DEP_1)
	v_lshlrev_b32_e32 v104, 1, v2
	ds_store_b16 v105, v0
	ds_load_u16 v0, v102
	v_lshlrev_b32_e32 v1, 3, v103
	v_or3_b32 v93, v33, v1, v104
	v_ashrrev_i32_e32 v1, s31, v17
	s_delay_alu instid0(VALU_DEP_1) | instskip(SKIP_1) | instid1(VALU_DEP_2)
	v_and_b32_e32 v2, 3, v1
	v_bfe_u32 v99, v1, 2, 2
	v_lshlrev_b32_e32 v101, 1, v2
	s_delay_alu instid0(VALU_DEP_2) | instskip(SKIP_2) | instid1(VALU_DEP_2)
	v_lshlrev_b32_e32 v1, 3, v99
	s_waitcnt lgkmcnt(0)
	v_add_nc_u16 v0, v0, 1
	v_or3_b32 v90, v33, v1, v101
	v_ashrrev_i32_e32 v1, s31, v18
	ds_store_b16 v102, v0
	ds_load_u16 v0, v98
	v_and_b32_e32 v2, 3, v1
	v_bfe_u32 v96, v1, 2, 2
	s_delay_alu instid0(VALU_DEP_2) | instskip(NEXT) | instid1(VALU_DEP_2)
	v_lshlrev_b32_e32 v97, 1, v2
	v_lshlrev_b32_e32 v1, 3, v96
	s_delay_alu instid0(VALU_DEP_1) | instskip(SKIP_3) | instid1(VALU_DEP_2)
	v_or3_b32 v87, v33, v1, v97
	v_ashrrev_i32_e32 v1, s31, v19
	s_waitcnt lgkmcnt(0)
	v_add_nc_u16 v0, v0, 1
	v_and_b32_e32 v2, 3, v1
	v_bfe_u32 v92, v1, 2, 2
	ds_store_b16 v98, v0
	ds_load_u16 v0, v95
	ds_load_b128 v[4:7], v50 offset:48
	v_lshlrev_b32_e32 v94, 1, v2
	v_lshlrev_b32_e32 v1, 3, v92
	ds_load_b128 v[12:15], v50 offset:64
	v_or3_b32 v84, v33, v1, v94
	s_waitcnt lgkmcnt(2)
	v_add_nc_u16 v0, v0, 1
	s_waitcnt lgkmcnt(1)
	v_ashrrev_i32_e32 v1, s31, v4
	s_waitcnt lgkmcnt(0)
	v_ashrrev_i32_e32 v30, s31, v12
	ds_store_b16 v95, v0
	ds_load_u16 v0, v93
	v_and_b32_e32 v2, 3, v1
	v_bfe_u32 v89, v1, 2, 2
	v_and_b32_e32 v31, 3, v30
	v_bfe_u32 v79, v30, 2, 2
	s_delay_alu instid0(VALU_DEP_4) | instskip(NEXT) | instid1(VALU_DEP_4)
	v_lshlrev_b32_e32 v91, 1, v2
	v_lshlrev_b32_e32 v1, 3, v89
	s_delay_alu instid0(VALU_DEP_4) | instskip(NEXT) | instid1(VALU_DEP_4)
	v_lshlrev_b32_e32 v80, 1, v31
	v_lshlrev_b32_e32 v30, 3, v79
	s_delay_alu instid0(VALU_DEP_3) | instskip(SKIP_1) | instid1(VALU_DEP_3)
	v_or3_b32 v81, v33, v1, v91
	v_ashrrev_i32_e32 v1, s31, v5
	v_or3_b32 v69, v33, v30, v80
	v_ashrrev_i32_e32 v30, s31, v13
	s_delay_alu instid0(VALU_DEP_3)
	v_and_b32_e32 v2, 3, v1
	v_bfe_u32 v86, v1, 2, 2
	s_waitcnt lgkmcnt(0)
	v_add_nc_u16 v0, v0, 1
	v_and_b32_e32 v31, 3, v30
	v_bfe_u32 v75, v30, 2, 2
	v_lshlrev_b32_e32 v88, 1, v2
	v_lshlrev_b32_e32 v1, 3, v86
	ds_store_b16 v93, v0
	ds_load_u16 v0, v90
	v_lshlrev_b32_e32 v77, 1, v31
	v_lshlrev_b32_e32 v30, 3, v75
	v_or3_b32 v78, v33, v1, v88
	v_ashrrev_i32_e32 v1, s31, v6
	s_delay_alu instid0(VALU_DEP_3) | instskip(SKIP_1) | instid1(VALU_DEP_3)
	v_or3_b32 v66, v33, v30, v77
	v_ashrrev_i32_e32 v30, s31, v14
	v_and_b32_e32 v2, 3, v1
	v_bfe_u32 v83, v1, 2, 2
	s_delay_alu instid0(VALU_DEP_3) | instskip(NEXT) | instid1(VALU_DEP_3)
	v_and_b32_e32 v31, 3, v30
	v_lshlrev_b32_e32 v85, 1, v2
	s_delay_alu instid0(VALU_DEP_3) | instskip(SKIP_1) | instid1(VALU_DEP_4)
	v_lshlrev_b32_e32 v1, 3, v83
	v_bfe_u32 v72, v30, 2, 2
	v_lshlrev_b32_e32 v73, 1, v31
	s_waitcnt lgkmcnt(0)
	v_add_nc_u16 v0, v0, 1
	v_or3_b32 v74, v33, v1, v85
	v_ashrrev_i32_e32 v1, s31, v7
	v_lshlrev_b32_e32 v30, 3, v72
	ds_store_b16 v90, v0
	ds_load_u16 v0, v87
	v_bfe_u32 v76, v1, 2, 2
	v_and_b32_e32 v1, 3, v1
	v_or3_b32 v63, v33, v30, v73
	v_ashrrev_i32_e32 v30, s31, v15
	s_delay_alu instid0(VALU_DEP_3) | instskip(SKIP_1) | instid1(VALU_DEP_3)
	v_lshlrev_b32_e32 v82, 1, v1
	v_lshlrev_b32_e32 v1, 3, v76
	v_and_b32_e32 v31, 3, v30
	v_bfe_u32 v68, v30, 2, 2
	s_delay_alu instid0(VALU_DEP_3) | instskip(NEXT) | instid1(VALU_DEP_3)
	v_or3_b32 v71, v33, v1, v82
	v_lshlrev_b32_e32 v70, 1, v31
	s_delay_alu instid0(VALU_DEP_3) | instskip(SKIP_2) | instid1(VALU_DEP_2)
	v_lshlrev_b32_e32 v30, 3, v68
	s_waitcnt lgkmcnt(0)
	v_add_nc_u16 v0, v0, 1
	v_or3_b32 v60, v33, v30, v70
	ds_store_b16 v87, v0
	ds_load_u16 v0, v84
	s_waitcnt lgkmcnt(0)
	v_add_nc_u16 v0, v0, 1
	ds_store_b16 v84, v0
	ds_load_u16 v0, v81
	s_waitcnt lgkmcnt(0)
	v_add_nc_u16 v0, v0, 1
	;; [unrolled: 4-line block ×4, first 2 shown]
	ds_store_b16 v74, v0
	ds_load_u16 v24, v71
	ds_load_b128 v[0:3], v50 offset:80
	s_waitcnt lgkmcnt(1)
	v_add_nc_u16 v24, v24, 1
	s_waitcnt lgkmcnt(0)
	v_ashrrev_i32_e32 v30, s31, v0
	ds_store_b16 v71, v24
	ds_load_u16 v24, v69
	v_and_b32_e32 v31, 3, v30
	v_bfe_u32 v65, v30, 2, 2
	s_delay_alu instid0(VALU_DEP_2) | instskip(NEXT) | instid1(VALU_DEP_2)
	v_lshlrev_b32_e32 v67, 1, v31
	v_lshlrev_b32_e32 v30, 3, v65
	s_delay_alu instid0(VALU_DEP_1) | instskip(SKIP_1) | instid1(VALU_DEP_1)
	v_or3_b32 v57, v33, v30, v67
	v_ashrrev_i32_e32 v30, s31, v1
	v_and_b32_e32 v31, 3, v30
	v_bfe_u32 v62, v30, 2, 2
	s_waitcnt lgkmcnt(0)
	v_add_nc_u16 v24, v24, 1
	s_delay_alu instid0(VALU_DEP_3) | instskip(NEXT) | instid1(VALU_DEP_3)
	v_lshlrev_b32_e32 v64, 1, v31
	v_lshlrev_b32_e32 v30, 3, v62
	ds_store_b16 v69, v24
	ds_load_u16 v24, v66
	v_or3_b32 v55, v33, v30, v64
	v_ashrrev_i32_e32 v30, s31, v2
	s_delay_alu instid0(VALU_DEP_1) | instskip(SKIP_1) | instid1(VALU_DEP_2)
	v_and_b32_e32 v31, 3, v30
	v_bfe_u32 v59, v30, 2, 2
	v_lshlrev_b32_e32 v61, 1, v31
	s_delay_alu instid0(VALU_DEP_2) | instskip(SKIP_2) | instid1(VALU_DEP_2)
	v_lshlrev_b32_e32 v30, 3, v59
	s_waitcnt lgkmcnt(0)
	v_add_nc_u16 v24, v24, 1
	v_or3_b32 v54, v33, v30, v61
	v_ashrrev_i32_e32 v30, s31, v3
	ds_store_b16 v66, v24
	ds_load_u16 v24, v63
	v_and_b32_e32 v31, 3, v30
	v_bfe_u32 v56, v30, 2, 2
	s_delay_alu instid0(VALU_DEP_2) | instskip(NEXT) | instid1(VALU_DEP_2)
	v_lshlrev_b32_e32 v58, 1, v31
	v_lshlrev_b32_e32 v30, 3, v56
	s_waitcnt lgkmcnt(0)
	v_add_nc_u16 v24, v24, 1
	ds_store_b16 v63, v24
	ds_load_u16 v24, v60
	s_waitcnt lgkmcnt(0)
	v_add_nc_u16 v24, v24, 1
	ds_store_b16 v60, v24
	ds_load_u16 v24, v57
	;; [unrolled: 4-line block ×4, first 2 shown]
	s_waitcnt lgkmcnt(0)
	v_add_nc_u16 v31, v24, 1
	v_or3_b32 v24, v33, v30, v58
	ds_store_b16 v54, v31
	ds_load_u16 v30, v24
	s_waitcnt lgkmcnt(0)
	v_add_nc_u16 v30, v30, 1
	ds_store_b16 v24, v30
	s_waitcnt lgkmcnt(0)
	s_barrier
	buffer_gl0_inv
	ds_load_b64 v[30:31], v33
	s_waitcnt lgkmcnt(0)
	ds_store_b64 v34, v[30:31]
	s_waitcnt lgkmcnt(0)
	s_barrier
	buffer_gl0_inv
	s_and_saveexec_b32 s33, s23
	s_cbranch_execz .LBB0_191
; %bb.190:                              ;   in Loop: Header=BB0_53 Depth=1
	ds_load_b128 v[125:128], v51
	s_waitcnt lgkmcnt(0)
	v_add_co_u32 v30, s30, v127, v125
	s_delay_alu instid0(VALU_DEP_1)
	v_add_co_ci_u32_e64 v31, s30, v128, v126, s30
	ds_store_b64 v51, v[30:31] offset:8
.LBB0_191:                              ;   in Loop: Header=BB0_53 Depth=1
	s_or_b32 exec_lo, exec_lo, s33
	s_waitcnt lgkmcnt(0)
	s_barrier
	buffer_gl0_inv
	s_and_saveexec_b32 s33, s24
	s_cbranch_execz .LBB0_193
; %bb.192:                              ;   in Loop: Header=BB0_53 Depth=1
	ds_load_b64 v[30:31], v36 offset:16408
	ds_load_b64 v[125:126], v35 offset:16408
	s_waitcnt lgkmcnt(0)
	v_add_co_u32 v30, s30, v125, v30
	s_delay_alu instid0(VALU_DEP_1)
	v_add_co_ci_u32_e64 v31, s30, v126, v31, s30
	ds_store_b64 v35, v[30:31] offset:16408
.LBB0_193:                              ;   in Loop: Header=BB0_53 Depth=1
	s_or_b32 exec_lo, exec_lo, s33
	s_waitcnt lgkmcnt(0)
	s_barrier
	buffer_gl0_inv
	s_and_saveexec_b32 s33, s25
	s_cbranch_execz .LBB0_195
; %bb.194:                              ;   in Loop: Header=BB0_53 Depth=1
	ds_load_b64 v[30:31], v38 offset:16408
	ds_load_b64 v[125:126], v37 offset:16408
	s_waitcnt lgkmcnt(0)
	v_add_co_u32 v30, s30, v125, v30
	s_delay_alu instid0(VALU_DEP_1)
	v_add_co_ci_u32_e64 v31, s30, v126, v31, s30
	ds_store_b64 v37, v[30:31] offset:16408
.LBB0_195:                              ;   in Loop: Header=BB0_53 Depth=1
	;; [unrolled: 15-line block ×5, first 2 shown]
	s_or_b32 exec_lo, exec_lo, s33
	s_waitcnt lgkmcnt(0)
	s_barrier
	buffer_gl0_inv
	s_and_saveexec_b32 s33, s29
	s_cbranch_execz .LBB0_203
; %bb.202:                              ;   in Loop: Header=BB0_53 Depth=1
	ds_load_2addr_stride64_b64 v[125:128], v53 offset0:33 offset1:34
	s_waitcnt lgkmcnt(0)
	v_add_co_u32 v30, s30, v127, v125
	s_delay_alu instid0(VALU_DEP_1)
	v_add_co_ci_u32_e64 v31, s30, v128, v126, s30
	ds_store_b64 v29, v[30:31] offset:17432
.LBB0_203:                              ;   in Loop: Header=BB0_53 Depth=1
	s_or_b32 exec_lo, exec_lo, s33
	s_waitcnt lgkmcnt(0)
	s_barrier
	buffer_gl0_inv
	s_barrier
	buffer_gl0_inv
	s_and_saveexec_b32 s33, s29
	s_cbranch_execz .LBB0_205
; %bb.204:                              ;   in Loop: Header=BB0_53 Depth=1
	ds_load_b64 v[125:126], v29 offset:17432
	v_mov_b32_e32 v30, v29
	s_waitcnt lgkmcnt(0)
	ds_store_b64 v29, v[125:126] offset:17440
	s_waitcnt lgkmcnt(0)
	buffer_gl0_inv
	ds_store_b64 v29, v[29:30] offset:17432
	s_waitcnt lgkmcnt(0)
	buffer_gl0_inv
	ds_load_2addr_stride64_b64 v[125:128], v53 offset0:33 offset1:34
	s_waitcnt lgkmcnt(0)
	v_add_co_u32 v30, s30, v127, v125
	s_delay_alu instid0(VALU_DEP_1)
	v_add_co_ci_u32_e64 v31, s30, v128, v126, s30
	ds_store_2addr_stride64_b64 v53, v[127:128], v[30:31] offset0:33 offset1:34
.LBB0_205:                              ;   in Loop: Header=BB0_53 Depth=1
	s_or_b32 exec_lo, exec_lo, s33
	s_waitcnt lgkmcnt(0)
	s_barrier
	buffer_gl0_inv
	s_and_saveexec_b32 s33, s28
	s_cbranch_execz .LBB0_207
; %bb.206:                              ;   in Loop: Header=BB0_53 Depth=1
	ds_load_b64 v[30:31], v44 offset:16408
	ds_load_b64 v[125:126], v43 offset:16408
	s_waitcnt lgkmcnt(0)
	v_add_co_u32 v30, s30, v125, v30
	s_delay_alu instid0(VALU_DEP_1)
	v_add_co_ci_u32_e64 v31, s30, v126, v31, s30
	ds_store_b64 v44, v[125:126] offset:16408
	ds_store_b64 v43, v[30:31] offset:16408
.LBB0_207:                              ;   in Loop: Header=BB0_53 Depth=1
	s_or_b32 exec_lo, exec_lo, s33
	s_waitcnt lgkmcnt(0)
	s_barrier
	buffer_gl0_inv
	s_and_saveexec_b32 s33, s27
	s_cbranch_execz .LBB0_209
; %bb.208:                              ;   in Loop: Header=BB0_53 Depth=1
	ds_load_b64 v[30:31], v42 offset:16408
	ds_load_b64 v[125:126], v41 offset:16408
	s_waitcnt lgkmcnt(0)
	v_add_co_u32 v30, s30, v125, v30
	s_delay_alu instid0(VALU_DEP_1)
	v_add_co_ci_u32_e64 v31, s30, v126, v31, s30
	ds_store_b64 v42, v[125:126] offset:16408
	ds_store_b64 v41, v[30:31] offset:16408
.LBB0_209:                              ;   in Loop: Header=BB0_53 Depth=1
	;; [unrolled: 16-line block ×5, first 2 shown]
	s_or_b32 exec_lo, exec_lo, s33
	s_waitcnt lgkmcnt(0)
	s_barrier
	buffer_gl0_inv
	s_and_saveexec_b32 s33, s23
	s_cbranch_execz .LBB0_217
; %bb.216:                              ;   in Loop: Header=BB0_53 Depth=1
	ds_load_b128 v[125:128], v51
	s_waitcnt lgkmcnt(0)
	v_add_co_u32 v129, s30, v127, v125
	s_delay_alu instid0(VALU_DEP_1)
	v_add_co_ci_u32_e64 v130, s30, v128, v126, s30
	ds_store_b128 v51, v[127:130]
.LBB0_217:                              ;   in Loop: Header=BB0_53 Depth=1
	s_or_b32 exec_lo, exec_lo, s33
	s_waitcnt lgkmcnt(0)
	s_barrier
	buffer_gl0_inv
	s_barrier
	buffer_gl0_inv
	ds_load_b64 v[30:31], v29 offset:17440
	s_waitcnt lgkmcnt(0)
	s_barrier
	buffer_gl0_inv
	ds_load_b64 v[125:126], v34
	s_waitcnt lgkmcnt(0)
	ds_store_b64 v33, v[125:126]
	s_and_saveexec_b32 s30, s29
	s_cbranch_execz .LBB0_219
; %bb.218:                              ;   in Loop: Header=BB0_53 Depth=1
	ds_store_b64 v29, v[30:31] offset:16384
.LBB0_219:                              ;   in Loop: Header=BB0_53 Depth=1
	s_or_b32 exec_lo, exec_lo, s30
	ds_load_b64 v[30:31], v33 offset:8
	s_waitcnt lgkmcnt(0)
	ds_store_b64 v34, v[30:31]
	s_waitcnt lgkmcnt(0)
	s_barrier
	buffer_gl0_inv
	s_and_saveexec_b32 s33, s23
	s_cbranch_execz .LBB0_221
; %bb.220:                              ;   in Loop: Header=BB0_53 Depth=1
	ds_load_b128 v[125:128], v51
	s_waitcnt lgkmcnt(0)
	v_add_co_u32 v30, s30, v127, v125
	s_delay_alu instid0(VALU_DEP_1)
	v_add_co_ci_u32_e64 v31, s30, v128, v126, s30
	ds_store_b64 v51, v[30:31] offset:8
.LBB0_221:                              ;   in Loop: Header=BB0_53 Depth=1
	s_or_b32 exec_lo, exec_lo, s33
	s_waitcnt lgkmcnt(0)
	s_barrier
	buffer_gl0_inv
	s_and_saveexec_b32 s33, s24
	s_cbranch_execz .LBB0_223
; %bb.222:                              ;   in Loop: Header=BB0_53 Depth=1
	ds_load_b64 v[30:31], v36 offset:16408
	ds_load_b64 v[125:126], v35 offset:16408
	s_waitcnt lgkmcnt(0)
	v_add_co_u32 v30, s30, v125, v30
	s_delay_alu instid0(VALU_DEP_1)
	v_add_co_ci_u32_e64 v31, s30, v126, v31, s30
	ds_store_b64 v35, v[30:31] offset:16408
.LBB0_223:                              ;   in Loop: Header=BB0_53 Depth=1
	s_or_b32 exec_lo, exec_lo, s33
	s_waitcnt lgkmcnt(0)
	s_barrier
	buffer_gl0_inv
	s_and_saveexec_b32 s33, s25
	s_cbranch_execz .LBB0_225
; %bb.224:                              ;   in Loop: Header=BB0_53 Depth=1
	ds_load_b64 v[30:31], v38 offset:16408
	ds_load_b64 v[125:126], v37 offset:16408
	s_waitcnt lgkmcnt(0)
	v_add_co_u32 v30, s30, v125, v30
	s_delay_alu instid0(VALU_DEP_1)
	v_add_co_ci_u32_e64 v31, s30, v126, v31, s30
	ds_store_b64 v37, v[30:31] offset:16408
.LBB0_225:                              ;   in Loop: Header=BB0_53 Depth=1
	;; [unrolled: 15-line block ×5, first 2 shown]
	s_or_b32 exec_lo, exec_lo, s33
	s_waitcnt lgkmcnt(0)
	s_barrier
	buffer_gl0_inv
	s_and_saveexec_b32 s33, s29
	s_cbranch_execz .LBB0_233
; %bb.232:                              ;   in Loop: Header=BB0_53 Depth=1
	ds_load_2addr_stride64_b64 v[125:128], v53 offset0:33 offset1:34
	s_waitcnt lgkmcnt(0)
	v_add_co_u32 v30, s30, v127, v125
	s_delay_alu instid0(VALU_DEP_1)
	v_add_co_ci_u32_e64 v31, s30, v128, v126, s30
	ds_store_b64 v29, v[30:31] offset:17432
.LBB0_233:                              ;   in Loop: Header=BB0_53 Depth=1
	s_or_b32 exec_lo, exec_lo, s33
	s_waitcnt lgkmcnt(0)
	s_barrier
	buffer_gl0_inv
	s_barrier
	buffer_gl0_inv
	s_and_saveexec_b32 s33, s29
	s_cbranch_execz .LBB0_235
; %bb.234:                              ;   in Loop: Header=BB0_53 Depth=1
	ds_load_b64 v[125:126], v29 offset:17432
	v_mov_b32_e32 v30, v29
	s_waitcnt lgkmcnt(0)
	ds_store_b64 v29, v[125:126] offset:17440
	s_waitcnt lgkmcnt(0)
	buffer_gl0_inv
	ds_store_b64 v29, v[29:30] offset:17432
	s_waitcnt lgkmcnt(0)
	buffer_gl0_inv
	ds_load_2addr_stride64_b64 v[125:128], v53 offset0:33 offset1:34
	s_waitcnt lgkmcnt(0)
	v_add_co_u32 v30, s30, v127, v125
	s_delay_alu instid0(VALU_DEP_1)
	v_add_co_ci_u32_e64 v31, s30, v128, v126, s30
	ds_store_2addr_stride64_b64 v53, v[127:128], v[30:31] offset0:33 offset1:34
.LBB0_235:                              ;   in Loop: Header=BB0_53 Depth=1
	s_or_b32 exec_lo, exec_lo, s33
	s_waitcnt lgkmcnt(0)
	s_barrier
	buffer_gl0_inv
	s_and_saveexec_b32 s33, s28
	s_cbranch_execz .LBB0_237
; %bb.236:                              ;   in Loop: Header=BB0_53 Depth=1
	ds_load_b64 v[30:31], v44 offset:16408
	ds_load_b64 v[125:126], v43 offset:16408
	s_waitcnt lgkmcnt(0)
	v_add_co_u32 v30, s30, v125, v30
	s_delay_alu instid0(VALU_DEP_1)
	v_add_co_ci_u32_e64 v31, s30, v126, v31, s30
	ds_store_b64 v44, v[125:126] offset:16408
	ds_store_b64 v43, v[30:31] offset:16408
.LBB0_237:                              ;   in Loop: Header=BB0_53 Depth=1
	s_or_b32 exec_lo, exec_lo, s33
	s_waitcnt lgkmcnt(0)
	s_barrier
	buffer_gl0_inv
	s_and_saveexec_b32 s33, s27
	s_cbranch_execz .LBB0_239
; %bb.238:                              ;   in Loop: Header=BB0_53 Depth=1
	ds_load_b64 v[30:31], v42 offset:16408
	ds_load_b64 v[125:126], v41 offset:16408
	s_waitcnt lgkmcnt(0)
	v_add_co_u32 v30, s30, v125, v30
	s_delay_alu instid0(VALU_DEP_1)
	v_add_co_ci_u32_e64 v31, s30, v126, v31, s30
	ds_store_b64 v42, v[125:126] offset:16408
	ds_store_b64 v41, v[30:31] offset:16408
.LBB0_239:                              ;   in Loop: Header=BB0_53 Depth=1
	;; [unrolled: 16-line block ×5, first 2 shown]
	s_or_b32 exec_lo, exec_lo, s33
	s_waitcnt lgkmcnt(0)
	s_barrier
	buffer_gl0_inv
	s_and_saveexec_b32 s33, s23
	s_cbranch_execz .LBB0_247
; %bb.246:                              ;   in Loop: Header=BB0_53 Depth=1
	ds_load_b128 v[125:128], v51
	s_waitcnt lgkmcnt(0)
	v_add_co_u32 v129, s30, v127, v125
	s_delay_alu instid0(VALU_DEP_1)
	v_add_co_ci_u32_e64 v130, s30, v128, v126, s30
	ds_store_b128 v51, v[127:130]
.LBB0_247:                              ;   in Loop: Header=BB0_53 Depth=1
	s_or_b32 exec_lo, exec_lo, s33
	s_waitcnt lgkmcnt(0)
	s_barrier
	buffer_gl0_inv
	s_barrier
	buffer_gl0_inv
	ds_load_b64 v[30:31], v29 offset:17440
	s_waitcnt lgkmcnt(0)
	s_barrier
	buffer_gl0_inv
	ds_load_b64 v[125:126], v34
	s_waitcnt lgkmcnt(0)
	ds_store_b64 v33, v[125:126] offset:8
	s_and_saveexec_b32 s30, s29
	s_cbranch_execz .LBB0_249
; %bb.248:                              ;   in Loop: Header=BB0_53 Depth=1
	ds_store_b64 v29, v[30:31] offset:16392
.LBB0_249:                              ;   in Loop: Header=BB0_53 Depth=1
	s_or_b32 exec_lo, exec_lo, s30
	ds_load_b64 v[30:31], v33 offset:16
	s_waitcnt lgkmcnt(0)
	ds_store_b64 v34, v[30:31]
	s_waitcnt lgkmcnt(0)
	s_barrier
	buffer_gl0_inv
	s_and_saveexec_b32 s33, s23
	s_cbranch_execz .LBB0_251
; %bb.250:                              ;   in Loop: Header=BB0_53 Depth=1
	ds_load_b128 v[125:128], v51
	s_waitcnt lgkmcnt(0)
	v_add_co_u32 v30, s30, v127, v125
	s_delay_alu instid0(VALU_DEP_1)
	v_add_co_ci_u32_e64 v31, s30, v128, v126, s30
	ds_store_b64 v51, v[30:31] offset:8
.LBB0_251:                              ;   in Loop: Header=BB0_53 Depth=1
	s_or_b32 exec_lo, exec_lo, s33
	s_waitcnt lgkmcnt(0)
	s_barrier
	buffer_gl0_inv
	s_and_saveexec_b32 s33, s24
	s_cbranch_execz .LBB0_253
; %bb.252:                              ;   in Loop: Header=BB0_53 Depth=1
	ds_load_b64 v[30:31], v36 offset:16408
	ds_load_b64 v[125:126], v35 offset:16408
	s_waitcnt lgkmcnt(0)
	v_add_co_u32 v30, s30, v125, v30
	s_delay_alu instid0(VALU_DEP_1)
	v_add_co_ci_u32_e64 v31, s30, v126, v31, s30
	ds_store_b64 v35, v[30:31] offset:16408
.LBB0_253:                              ;   in Loop: Header=BB0_53 Depth=1
	s_or_b32 exec_lo, exec_lo, s33
	s_waitcnt lgkmcnt(0)
	s_barrier
	buffer_gl0_inv
	s_and_saveexec_b32 s33, s25
	s_cbranch_execz .LBB0_255
; %bb.254:                              ;   in Loop: Header=BB0_53 Depth=1
	ds_load_b64 v[30:31], v38 offset:16408
	ds_load_b64 v[125:126], v37 offset:16408
	s_waitcnt lgkmcnt(0)
	v_add_co_u32 v30, s30, v125, v30
	s_delay_alu instid0(VALU_DEP_1)
	v_add_co_ci_u32_e64 v31, s30, v126, v31, s30
	ds_store_b64 v37, v[30:31] offset:16408
.LBB0_255:                              ;   in Loop: Header=BB0_53 Depth=1
	;; [unrolled: 15-line block ×5, first 2 shown]
	s_or_b32 exec_lo, exec_lo, s33
	s_waitcnt lgkmcnt(0)
	s_barrier
	buffer_gl0_inv
	s_and_saveexec_b32 s33, s29
	s_cbranch_execz .LBB0_263
; %bb.262:                              ;   in Loop: Header=BB0_53 Depth=1
	ds_load_2addr_stride64_b64 v[125:128], v53 offset0:33 offset1:34
	s_waitcnt lgkmcnt(0)
	v_add_co_u32 v30, s30, v127, v125
	s_delay_alu instid0(VALU_DEP_1)
	v_add_co_ci_u32_e64 v31, s30, v128, v126, s30
	ds_store_b64 v29, v[30:31] offset:17432
.LBB0_263:                              ;   in Loop: Header=BB0_53 Depth=1
	s_or_b32 exec_lo, exec_lo, s33
	s_waitcnt lgkmcnt(0)
	s_barrier
	buffer_gl0_inv
	s_barrier
	buffer_gl0_inv
	s_and_saveexec_b32 s33, s29
	s_cbranch_execz .LBB0_265
; %bb.264:                              ;   in Loop: Header=BB0_53 Depth=1
	ds_load_b64 v[125:126], v29 offset:17432
	v_mov_b32_e32 v30, v29
	s_waitcnt lgkmcnt(0)
	ds_store_b64 v29, v[125:126] offset:17440
	s_waitcnt lgkmcnt(0)
	buffer_gl0_inv
	ds_store_b64 v29, v[29:30] offset:17432
	s_waitcnt lgkmcnt(0)
	buffer_gl0_inv
	ds_load_2addr_stride64_b64 v[125:128], v53 offset0:33 offset1:34
	s_waitcnt lgkmcnt(0)
	v_add_co_u32 v30, s30, v127, v125
	s_delay_alu instid0(VALU_DEP_1)
	v_add_co_ci_u32_e64 v31, s30, v128, v126, s30
	ds_store_2addr_stride64_b64 v53, v[127:128], v[30:31] offset0:33 offset1:34
.LBB0_265:                              ;   in Loop: Header=BB0_53 Depth=1
	s_or_b32 exec_lo, exec_lo, s33
	s_waitcnt lgkmcnt(0)
	s_barrier
	buffer_gl0_inv
	s_and_saveexec_b32 s33, s28
	s_cbranch_execz .LBB0_267
; %bb.266:                              ;   in Loop: Header=BB0_53 Depth=1
	ds_load_b64 v[30:31], v44 offset:16408
	ds_load_b64 v[125:126], v43 offset:16408
	s_waitcnt lgkmcnt(0)
	v_add_co_u32 v30, s30, v125, v30
	s_delay_alu instid0(VALU_DEP_1)
	v_add_co_ci_u32_e64 v31, s30, v126, v31, s30
	ds_store_b64 v44, v[125:126] offset:16408
	ds_store_b64 v43, v[30:31] offset:16408
.LBB0_267:                              ;   in Loop: Header=BB0_53 Depth=1
	s_or_b32 exec_lo, exec_lo, s33
	s_waitcnt lgkmcnt(0)
	s_barrier
	buffer_gl0_inv
	s_and_saveexec_b32 s33, s27
	s_cbranch_execz .LBB0_269
; %bb.268:                              ;   in Loop: Header=BB0_53 Depth=1
	ds_load_b64 v[30:31], v42 offset:16408
	ds_load_b64 v[125:126], v41 offset:16408
	s_waitcnt lgkmcnt(0)
	v_add_co_u32 v30, s30, v125, v30
	s_delay_alu instid0(VALU_DEP_1)
	v_add_co_ci_u32_e64 v31, s30, v126, v31, s30
	ds_store_b64 v42, v[125:126] offset:16408
	ds_store_b64 v41, v[30:31] offset:16408
.LBB0_269:                              ;   in Loop: Header=BB0_53 Depth=1
	;; [unrolled: 16-line block ×5, first 2 shown]
	s_or_b32 exec_lo, exec_lo, s33
	s_waitcnt lgkmcnt(0)
	s_barrier
	buffer_gl0_inv
	s_and_saveexec_b32 s33, s23
	s_cbranch_execz .LBB0_277
; %bb.276:                              ;   in Loop: Header=BB0_53 Depth=1
	ds_load_b128 v[125:128], v51
	s_waitcnt lgkmcnt(0)
	v_add_co_u32 v129, s30, v127, v125
	s_delay_alu instid0(VALU_DEP_1)
	v_add_co_ci_u32_e64 v130, s30, v128, v126, s30
	ds_store_b128 v51, v[127:130]
.LBB0_277:                              ;   in Loop: Header=BB0_53 Depth=1
	s_or_b32 exec_lo, exec_lo, s33
	s_waitcnt lgkmcnt(0)
	s_barrier
	buffer_gl0_inv
	s_barrier
	buffer_gl0_inv
	ds_load_b64 v[30:31], v29 offset:17440
	s_waitcnt lgkmcnt(0)
	s_barrier
	buffer_gl0_inv
	ds_load_b64 v[125:126], v34
	s_waitcnt lgkmcnt(0)
	ds_store_b64 v33, v[125:126] offset:16
	s_and_saveexec_b32 s30, s29
	s_cbranch_execz .LBB0_279
; %bb.278:                              ;   in Loop: Header=BB0_53 Depth=1
	ds_store_b64 v29, v[30:31] offset:16400
.LBB0_279:                              ;   in Loop: Header=BB0_53 Depth=1
	s_or_b32 exec_lo, exec_lo, s30
	ds_load_b64 v[30:31], v33 offset:24
	s_waitcnt lgkmcnt(0)
	ds_store_b64 v34, v[30:31]
	s_waitcnt lgkmcnt(0)
	s_barrier
	buffer_gl0_inv
	s_and_saveexec_b32 s33, s23
	s_cbranch_execz .LBB0_281
; %bb.280:                              ;   in Loop: Header=BB0_53 Depth=1
	ds_load_b128 v[125:128], v51
	s_waitcnt lgkmcnt(0)
	v_add_co_u32 v30, s30, v127, v125
	s_delay_alu instid0(VALU_DEP_1)
	v_add_co_ci_u32_e64 v31, s30, v128, v126, s30
	ds_store_b64 v51, v[30:31] offset:8
.LBB0_281:                              ;   in Loop: Header=BB0_53 Depth=1
	s_or_b32 exec_lo, exec_lo, s33
	s_waitcnt lgkmcnt(0)
	s_barrier
	buffer_gl0_inv
	s_and_saveexec_b32 s33, s24
	s_cbranch_execz .LBB0_283
; %bb.282:                              ;   in Loop: Header=BB0_53 Depth=1
	ds_load_b64 v[30:31], v36 offset:16408
	ds_load_b64 v[125:126], v35 offset:16408
	s_waitcnt lgkmcnt(0)
	v_add_co_u32 v30, s30, v125, v30
	s_delay_alu instid0(VALU_DEP_1)
	v_add_co_ci_u32_e64 v31, s30, v126, v31, s30
	ds_store_b64 v35, v[30:31] offset:16408
.LBB0_283:                              ;   in Loop: Header=BB0_53 Depth=1
	s_or_b32 exec_lo, exec_lo, s33
	s_waitcnt lgkmcnt(0)
	s_barrier
	buffer_gl0_inv
	s_and_saveexec_b32 s33, s25
	s_cbranch_execz .LBB0_285
; %bb.284:                              ;   in Loop: Header=BB0_53 Depth=1
	ds_load_b64 v[30:31], v38 offset:16408
	ds_load_b64 v[125:126], v37 offset:16408
	s_waitcnt lgkmcnt(0)
	v_add_co_u32 v30, s30, v125, v30
	s_delay_alu instid0(VALU_DEP_1)
	v_add_co_ci_u32_e64 v31, s30, v126, v31, s30
	ds_store_b64 v37, v[30:31] offset:16408
.LBB0_285:                              ;   in Loop: Header=BB0_53 Depth=1
	;; [unrolled: 15-line block ×5, first 2 shown]
	s_or_b32 exec_lo, exec_lo, s33
	s_waitcnt lgkmcnt(0)
	s_barrier
	buffer_gl0_inv
	s_and_saveexec_b32 s33, s29
	s_cbranch_execz .LBB0_293
; %bb.292:                              ;   in Loop: Header=BB0_53 Depth=1
	ds_load_2addr_stride64_b64 v[125:128], v53 offset0:33 offset1:34
	s_waitcnt lgkmcnt(0)
	v_add_co_u32 v30, s30, v127, v125
	s_delay_alu instid0(VALU_DEP_1)
	v_add_co_ci_u32_e64 v31, s30, v128, v126, s30
	ds_store_b64 v29, v[30:31] offset:17432
.LBB0_293:                              ;   in Loop: Header=BB0_53 Depth=1
	s_or_b32 exec_lo, exec_lo, s33
	s_waitcnt lgkmcnt(0)
	s_barrier
	buffer_gl0_inv
	s_barrier
	buffer_gl0_inv
	s_and_saveexec_b32 s33, s29
	s_cbranch_execz .LBB0_295
; %bb.294:                              ;   in Loop: Header=BB0_53 Depth=1
	ds_load_b64 v[125:126], v29 offset:17432
	v_mov_b32_e32 v30, v29
	s_waitcnt lgkmcnt(0)
	ds_store_b64 v29, v[125:126] offset:17440
	s_waitcnt lgkmcnt(0)
	buffer_gl0_inv
	ds_store_b64 v29, v[29:30] offset:17432
	s_waitcnt lgkmcnt(0)
	buffer_gl0_inv
	ds_load_2addr_stride64_b64 v[125:128], v53 offset0:33 offset1:34
	s_waitcnt lgkmcnt(0)
	v_add_co_u32 v30, s30, v127, v125
	s_delay_alu instid0(VALU_DEP_1)
	v_add_co_ci_u32_e64 v31, s30, v128, v126, s30
	ds_store_2addr_stride64_b64 v53, v[127:128], v[30:31] offset0:33 offset1:34
.LBB0_295:                              ;   in Loop: Header=BB0_53 Depth=1
	s_or_b32 exec_lo, exec_lo, s33
	s_waitcnt lgkmcnt(0)
	s_barrier
	buffer_gl0_inv
	s_and_saveexec_b32 s33, s28
	s_cbranch_execz .LBB0_297
; %bb.296:                              ;   in Loop: Header=BB0_53 Depth=1
	ds_load_b64 v[30:31], v44 offset:16408
	ds_load_b64 v[125:126], v43 offset:16408
	s_waitcnt lgkmcnt(0)
	v_add_co_u32 v30, s30, v125, v30
	s_delay_alu instid0(VALU_DEP_1)
	v_add_co_ci_u32_e64 v31, s30, v126, v31, s30
	ds_store_b64 v44, v[125:126] offset:16408
	ds_store_b64 v43, v[30:31] offset:16408
.LBB0_297:                              ;   in Loop: Header=BB0_53 Depth=1
	s_or_b32 exec_lo, exec_lo, s33
	s_waitcnt lgkmcnt(0)
	s_barrier
	buffer_gl0_inv
	s_and_saveexec_b32 s33, s27
	s_cbranch_execz .LBB0_299
; %bb.298:                              ;   in Loop: Header=BB0_53 Depth=1
	ds_load_b64 v[30:31], v42 offset:16408
	ds_load_b64 v[125:126], v41 offset:16408
	s_waitcnt lgkmcnt(0)
	v_add_co_u32 v30, s30, v125, v30
	s_delay_alu instid0(VALU_DEP_1)
	v_add_co_ci_u32_e64 v31, s30, v126, v31, s30
	ds_store_b64 v42, v[125:126] offset:16408
	ds_store_b64 v41, v[30:31] offset:16408
.LBB0_299:                              ;   in Loop: Header=BB0_53 Depth=1
	;; [unrolled: 16-line block ×5, first 2 shown]
	s_or_b32 exec_lo, exec_lo, s33
	s_waitcnt lgkmcnt(0)
	s_barrier
	buffer_gl0_inv
	s_and_saveexec_b32 s33, s23
	s_cbranch_execz .LBB0_307
; %bb.306:                              ;   in Loop: Header=BB0_53 Depth=1
	ds_load_b128 v[125:128], v51
	s_waitcnt lgkmcnt(0)
	v_add_co_u32 v129, s30, v127, v125
	s_delay_alu instid0(VALU_DEP_1)
	v_add_co_ci_u32_e64 v130, s30, v128, v126, s30
	ds_store_b128 v51, v[127:130]
.LBB0_307:                              ;   in Loop: Header=BB0_53 Depth=1
	s_or_b32 exec_lo, exec_lo, s33
	s_waitcnt lgkmcnt(0)
	s_barrier
	buffer_gl0_inv
	s_barrier
	buffer_gl0_inv
	ds_load_b64 v[30:31], v29 offset:17440
	s_waitcnt lgkmcnt(0)
	s_barrier
	buffer_gl0_inv
	ds_load_b64 v[125:126], v34
	s_waitcnt lgkmcnt(0)
	ds_store_b64 v33, v[125:126] offset:24
	s_and_saveexec_b32 s30, s29
	s_cbranch_execz .LBB0_309
; %bb.308:                              ;   in Loop: Header=BB0_53 Depth=1
	ds_store_b64 v29, v[30:31] offset:16408
.LBB0_309:                              ;   in Loop: Header=BB0_53 Depth=1
	s_or_b32 exec_lo, exec_lo, s30
	s_waitcnt lgkmcnt(0)
	s_barrier
	buffer_gl0_inv
	s_and_saveexec_b32 s30, s26
	s_delay_alu instid0(SALU_CYCLE_1)
	s_xor_b32 s30, exec_lo, s30
	s_cbranch_execz .LBB0_311
; %bb.310:                              ;   in Loop: Header=BB0_53 Depth=1
	ds_load_u16 v30, v52 offset:4096
	ds_load_u16 v31, v45 offset:2
	s_waitcnt lgkmcnt(0)
	v_add_nc_u16 v30, v31, v30
	ds_store_b16 v45, v30 offset:2
.LBB0_311:                              ;   in Loop: Header=BB0_53 Depth=1
	s_or_b32 exec_lo, exec_lo, s30
	s_waitcnt lgkmcnt(0)
	s_barrier
	buffer_gl0_inv
	s_and_saveexec_b32 s30, s27
	s_cbranch_execz .LBB0_313
; %bb.312:                              ;   in Loop: Header=BB0_53 Depth=1
	ds_load_u16 v30, v46 offset:16382
	ds_load_u16 v31, v47 offset:16382
	s_waitcnt lgkmcnt(0)
	v_add_nc_u16 v30, v31, v30
	ds_store_b16 v47, v30 offset:16382
.LBB0_313:                              ;   in Loop: Header=BB0_53 Depth=1
	s_or_b32 exec_lo, exec_lo, s30
	s_waitcnt lgkmcnt(0)
	s_barrier
	buffer_gl0_inv
	s_and_saveexec_b32 s30, s28
	;; [unrolled: 13-line block ×3, first 2 shown]
	s_cbranch_execz .LBB0_317
; %bb.316:                              ;   in Loop: Header=BB0_53 Depth=1
	ds_load_u16 v30, v29 offset:16398
	ds_load_u16 v31, v29 offset:16414
	s_waitcnt lgkmcnt(0)
	v_add_nc_u32_e32 v30, v31, v30
	ds_store_b16 v29, v30 offset:16414
.LBB0_317:                              ;   in Loop: Header=BB0_53 Depth=1
	s_or_b32 exec_lo, exec_lo, s30
	s_waitcnt lgkmcnt(0)
	s_barrier
	buffer_gl0_inv
	s_barrier
	buffer_gl0_inv
	s_and_saveexec_b32 s30, s29
	s_cbranch_execz .LBB0_319
; %bb.318:                              ;   in Loop: Header=BB0_53 Depth=1
	ds_load_u16 v30, v29 offset:16414
	s_waitcnt lgkmcnt(0)
	ds_store_b16 v29, v30 offset:17448
	s_waitcnt lgkmcnt(0)
	buffer_gl0_inv
	ds_store_b16 v29, v29 offset:16414
	s_waitcnt lgkmcnt(0)
	buffer_gl0_inv
	ds_load_u16 v30, v29 offset:16398
	ds_load_u16 v31, v29 offset:16414
	s_waitcnt lgkmcnt(0)
	v_add_nc_u32_e32 v30, v31, v30
	ds_store_b16 v29, v31 offset:16398
	ds_store_b16 v29, v30 offset:16414
.LBB0_319:                              ;   in Loop: Header=BB0_53 Depth=1
	s_or_b32 exec_lo, exec_lo, s30
	s_waitcnt lgkmcnt(0)
	s_barrier
	buffer_gl0_inv
	s_and_saveexec_b32 s30, s28
	s_cbranch_execz .LBB0_321
; %bb.320:                              ;   in Loop: Header=BB0_53 Depth=1
	ds_load_u16 v30, v48 offset:16382
	ds_load_u16 v31, v49 offset:16382
	s_waitcnt lgkmcnt(0)
	v_add_nc_u16 v30, v31, v30
	ds_store_b16 v48, v31 offset:16382
	ds_store_b16 v49, v30 offset:16382
.LBB0_321:                              ;   in Loop: Header=BB0_53 Depth=1
	s_or_b32 exec_lo, exec_lo, s30
	s_waitcnt lgkmcnt(0)
	s_barrier
	buffer_gl0_inv
	s_and_saveexec_b32 s30, s27
	s_cbranch_execz .LBB0_323
; %bb.322:                              ;   in Loop: Header=BB0_53 Depth=1
	ds_load_u16 v30, v46 offset:16382
	ds_load_u16 v31, v47 offset:16382
	s_waitcnt lgkmcnt(0)
	v_add_nc_u16 v30, v31, v30
	ds_store_b16 v46, v31 offset:16382
	ds_store_b16 v47, v30 offset:16382
.LBB0_323:                              ;   in Loop: Header=BB0_53 Depth=1
	s_or_b32 exec_lo, exec_lo, s30
	s_waitcnt lgkmcnt(0)
	s_barrier
	buffer_gl0_inv
	s_and_saveexec_b32 s30, s26
	s_cbranch_execz .LBB0_52
; %bb.324:                              ;   in Loop: Header=BB0_53 Depth=1
	ds_load_u16 v30, v52 offset:4096
	ds_load_u16 v31, v45 offset:2
	s_waitcnt lgkmcnt(0)
	v_add_nc_u16 v30, v31, v30
	ds_store_b16 v52, v31 offset:4096
	ds_store_b16 v45, v30 offset:2
	s_branch .LBB0_52
.LBB0_325:
	s_and_saveexec_b32 s23, vcc_lo
	s_cbranch_execnz .LBB0_349
; %bb.326:
	s_or_b32 exec_lo, exec_lo, s23
	s_and_saveexec_b32 s23, s0
	s_cbranch_execnz .LBB0_350
.LBB0_327:
	s_or_b32 exec_lo, exec_lo, s23
	s_and_saveexec_b32 s0, s1
	s_cbranch_execnz .LBB0_351
.LBB0_328:
	s_or_b32 exec_lo, exec_lo, s0
	s_and_saveexec_b32 s0, s2
	s_cbranch_execnz .LBB0_352
.LBB0_329:
	s_or_b32 exec_lo, exec_lo, s0
	s_and_saveexec_b32 s0, s3
	s_cbranch_execnz .LBB0_353
.LBB0_330:
	s_or_b32 exec_lo, exec_lo, s0
	s_and_saveexec_b32 s0, s4
	s_cbranch_execnz .LBB0_354
.LBB0_331:
	s_or_b32 exec_lo, exec_lo, s0
	s_and_saveexec_b32 s0, s5
	s_cbranch_execnz .LBB0_355
.LBB0_332:
	s_or_b32 exec_lo, exec_lo, s0
	s_and_saveexec_b32 s0, s6
	s_cbranch_execnz .LBB0_356
.LBB0_333:
	s_or_b32 exec_lo, exec_lo, s0
	s_and_saveexec_b32 s0, s7
	s_cbranch_execnz .LBB0_357
.LBB0_334:
	s_or_b32 exec_lo, exec_lo, s0
	s_and_saveexec_b32 s0, s8
	s_cbranch_execnz .LBB0_358
.LBB0_335:
	s_or_b32 exec_lo, exec_lo, s0
	s_and_saveexec_b32 s0, s9
	s_cbranch_execnz .LBB0_359
.LBB0_336:
	s_or_b32 exec_lo, exec_lo, s0
	s_and_saveexec_b32 s0, s10
	s_cbranch_execnz .LBB0_360
.LBB0_337:
	s_or_b32 exec_lo, exec_lo, s0
	s_and_saveexec_b32 s0, s11
	s_cbranch_execnz .LBB0_361
.LBB0_338:
	s_or_b32 exec_lo, exec_lo, s0
	s_and_saveexec_b32 s0, s12
	s_cbranch_execnz .LBB0_362
.LBB0_339:
	s_or_b32 exec_lo, exec_lo, s0
	s_and_saveexec_b32 s0, s13
	s_cbranch_execnz .LBB0_363
.LBB0_340:
	s_or_b32 exec_lo, exec_lo, s0
	s_and_saveexec_b32 s0, s14
	s_cbranch_execnz .LBB0_364
.LBB0_341:
	s_or_b32 exec_lo, exec_lo, s0
	s_and_saveexec_b32 s0, s15
	s_cbranch_execnz .LBB0_365
.LBB0_342:
	s_or_b32 exec_lo, exec_lo, s0
	s_and_saveexec_b32 s0, s16
	s_cbranch_execnz .LBB0_366
.LBB0_343:
	s_or_b32 exec_lo, exec_lo, s0
	s_and_saveexec_b32 s0, s17
	s_cbranch_execnz .LBB0_367
.LBB0_344:
	s_or_b32 exec_lo, exec_lo, s0
	s_and_saveexec_b32 s0, s18
	s_cbranch_execnz .LBB0_368
.LBB0_345:
	s_or_b32 exec_lo, exec_lo, s0
	s_and_saveexec_b32 s0, s19
	s_cbranch_execnz .LBB0_369
.LBB0_346:
	s_or_b32 exec_lo, exec_lo, s0
	s_and_saveexec_b32 s0, s20
	s_cbranch_execnz .LBB0_370
.LBB0_347:
	s_or_b32 exec_lo, exec_lo, s0
	s_and_saveexec_b32 s0, s21
	s_cbranch_execnz .LBB0_371
.LBB0_348:
	s_or_b32 exec_lo, exec_lo, s0
	s_and_saveexec_b32 s0, s22
	s_cbranch_execz .LBB0_1
	s_branch .LBB0_372
.LBB0_349:
	s_waitcnt lgkmcnt(5)
	global_store_b32 v32, v21, s[38:39]
	s_or_b32 exec_lo, exec_lo, s23
	s_and_saveexec_b32 s23, s0
	s_cbranch_execz .LBB0_327
.LBB0_350:
	s_waitcnt lgkmcnt(5)
	global_store_b32 v32, v22, s[38:39] offset:4
	s_or_b32 exec_lo, exec_lo, s23
	s_and_saveexec_b32 s0, s1
	s_cbranch_execz .LBB0_328
.LBB0_351:
	s_waitcnt lgkmcnt(5)
	global_store_b32 v32, v23, s[38:39] offset:8
	s_or_b32 exec_lo, exec_lo, s0
	s_and_saveexec_b32 s0, s2
	s_cbranch_execz .LBB0_329
.LBB0_352:
	s_waitcnt lgkmcnt(5)
	global_store_b32 v32, v24, s[38:39] offset:12
	s_or_b32 exec_lo, exec_lo, s0
	s_and_saveexec_b32 s0, s3
	s_cbranch_execz .LBB0_330
.LBB0_353:
	s_waitcnt lgkmcnt(4)
	global_store_b32 v32, v17, s[38:39] offset:16
	s_or_b32 exec_lo, exec_lo, s0
	s_and_saveexec_b32 s0, s4
	s_cbranch_execz .LBB0_331
.LBB0_354:
	s_waitcnt lgkmcnt(4)
	global_store_b32 v32, v18, s[38:39] offset:20
	s_or_b32 exec_lo, exec_lo, s0
	s_and_saveexec_b32 s0, s5
	s_cbranch_execz .LBB0_332
.LBB0_355:
	s_waitcnt lgkmcnt(4)
	global_store_b32 v32, v19, s[38:39] offset:24
	s_or_b32 exec_lo, exec_lo, s0
	s_and_saveexec_b32 s0, s6
	s_cbranch_execz .LBB0_333
.LBB0_356:
	s_waitcnt lgkmcnt(4)
	global_store_b32 v32, v20, s[38:39] offset:28
	s_or_b32 exec_lo, exec_lo, s0
	s_and_saveexec_b32 s0, s7
	s_cbranch_execz .LBB0_334
.LBB0_357:
	s_waitcnt lgkmcnt(3)
	global_store_b32 v32, v13, s[38:39] offset:32
	s_or_b32 exec_lo, exec_lo, s0
	s_and_saveexec_b32 s0, s8
	s_cbranch_execz .LBB0_335
.LBB0_358:
	s_waitcnt lgkmcnt(3)
	global_store_b32 v32, v14, s[38:39] offset:36
	s_or_b32 exec_lo, exec_lo, s0
	s_and_saveexec_b32 s0, s9
	s_cbranch_execz .LBB0_336
.LBB0_359:
	s_waitcnt lgkmcnt(3)
	global_store_b32 v32, v15, s[38:39] offset:40
	s_or_b32 exec_lo, exec_lo, s0
	s_and_saveexec_b32 s0, s10
	s_cbranch_execz .LBB0_337
.LBB0_360:
	s_waitcnt lgkmcnt(3)
	global_store_b32 v32, v16, s[38:39] offset:44
	s_or_b32 exec_lo, exec_lo, s0
	s_and_saveexec_b32 s0, s11
	s_cbranch_execz .LBB0_338
.LBB0_361:
	s_waitcnt lgkmcnt(2)
	global_store_b32 v32, v9, s[38:39] offset:48
	s_or_b32 exec_lo, exec_lo, s0
	s_and_saveexec_b32 s0, s12
	s_cbranch_execz .LBB0_339
.LBB0_362:
	s_waitcnt lgkmcnt(2)
	global_store_b32 v32, v10, s[38:39] offset:52
	s_or_b32 exec_lo, exec_lo, s0
	s_and_saveexec_b32 s0, s13
	s_cbranch_execz .LBB0_340
.LBB0_363:
	s_waitcnt lgkmcnt(2)
	global_store_b32 v32, v11, s[38:39] offset:56
	s_or_b32 exec_lo, exec_lo, s0
	s_and_saveexec_b32 s0, s14
	s_cbranch_execz .LBB0_341
.LBB0_364:
	s_waitcnt lgkmcnt(2)
	global_store_b32 v32, v12, s[38:39] offset:60
	s_or_b32 exec_lo, exec_lo, s0
	s_and_saveexec_b32 s0, s15
	s_cbranch_execz .LBB0_342
.LBB0_365:
	s_waitcnt lgkmcnt(1)
	global_store_b32 v32, v5, s[38:39] offset:64
	s_or_b32 exec_lo, exec_lo, s0
	s_and_saveexec_b32 s0, s16
	s_cbranch_execz .LBB0_343
.LBB0_366:
	s_waitcnt lgkmcnt(1)
	global_store_b32 v32, v6, s[38:39] offset:68
	s_or_b32 exec_lo, exec_lo, s0
	s_and_saveexec_b32 s0, s17
	s_cbranch_execz .LBB0_344
.LBB0_367:
	s_waitcnt lgkmcnt(1)
	global_store_b32 v32, v7, s[38:39] offset:72
	s_or_b32 exec_lo, exec_lo, s0
	s_and_saveexec_b32 s0, s18
	s_cbranch_execz .LBB0_345
.LBB0_368:
	s_waitcnt lgkmcnt(1)
	global_store_b32 v32, v8, s[38:39] offset:76
	s_or_b32 exec_lo, exec_lo, s0
	s_and_saveexec_b32 s0, s19
	s_cbranch_execz .LBB0_346
.LBB0_369:
	s_waitcnt lgkmcnt(0)
	global_store_b32 v32, v1, s[38:39] offset:80
	s_or_b32 exec_lo, exec_lo, s0
	s_and_saveexec_b32 s0, s20
	s_cbranch_execz .LBB0_347
.LBB0_370:
	s_waitcnt lgkmcnt(0)
	global_store_b32 v32, v2, s[38:39] offset:84
	s_or_b32 exec_lo, exec_lo, s0
	s_and_saveexec_b32 s0, s21
	s_cbranch_execz .LBB0_348
.LBB0_371:
	s_waitcnt lgkmcnt(0)
	global_store_b32 v32, v3, s[38:39] offset:88
	s_or_b32 exec_lo, exec_lo, s0
	s_and_saveexec_b32 s0, s22
	s_cbranch_execz .LBB0_1
.LBB0_372:
	s_waitcnt lgkmcnt(0)
	global_store_b32 v32, v4, s[38:39] offset:92
	s_nop 0
	s_sendmsg sendmsg(MSG_DEALLOC_VGPRS)
	s_endpgm
	.section	.rodata,"a",@progbits
	.p2align	6, 0x0
	.amdhsa_kernel SortSinglePassKernel
		.amdhsa_group_segment_fixed_size 17456
		.amdhsa_private_segment_fixed_size 0
		.amdhsa_kernarg_size 28
		.amdhsa_user_sgpr_count 15
		.amdhsa_user_sgpr_dispatch_ptr 0
		.amdhsa_user_sgpr_queue_ptr 0
		.amdhsa_user_sgpr_kernarg_segment_ptr 1
		.amdhsa_user_sgpr_dispatch_id 0
		.amdhsa_user_sgpr_private_segment_size 0
		.amdhsa_wavefront_size32 1
		.amdhsa_uses_dynamic_stack 0
		.amdhsa_enable_private_segment 0
		.amdhsa_system_sgpr_workgroup_id_x 1
		.amdhsa_system_sgpr_workgroup_id_y 0
		.amdhsa_system_sgpr_workgroup_id_z 0
		.amdhsa_system_sgpr_workgroup_info 0
		.amdhsa_system_vgpr_workitem_id 0
		.amdhsa_next_free_vgpr 131
		.amdhsa_next_free_sgpr 44
		.amdhsa_reserve_vcc 1
		.amdhsa_float_round_mode_32 0
		.amdhsa_float_round_mode_16_64 0
		.amdhsa_float_denorm_mode_32 3
		.amdhsa_float_denorm_mode_16_64 3
		.amdhsa_dx10_clamp 1
		.amdhsa_ieee_mode 1
		.amdhsa_fp16_overflow 0
		.amdhsa_workgroup_processor_mode 1
		.amdhsa_memory_ordered 1
		.amdhsa_forward_progress 0
		.amdhsa_shared_vgpr_count 0
		.amdhsa_exception_fp_ieee_invalid_op 0
		.amdhsa_exception_fp_denorm_src 0
		.amdhsa_exception_fp_ieee_div_zero 0
		.amdhsa_exception_fp_ieee_overflow 0
		.amdhsa_exception_fp_ieee_underflow 0
		.amdhsa_exception_fp_ieee_inexact 0
		.amdhsa_exception_int_div_zero 0
	.end_amdhsa_kernel
	.text
.Lfunc_end0:
	.size	SortSinglePassKernel, .Lfunc_end0-SortSinglePassKernel
                                        ; -- End function
	.section	.AMDGPU.csdata,"",@progbits
; Kernel info:
; codeLenInByte = 20804
; NumSgprs: 46
; NumVgprs: 131
; ScratchSize: 0
; MemoryBound: 0
; FloatMode: 240
; IeeeMode: 1
; LDSByteSize: 17456 bytes/workgroup (compile time only)
; SGPRBlocks: 5
; VGPRBlocks: 16
; NumSGPRsForWavesPerEU: 46
; NumVGPRsForWavesPerEU: 131
; Occupancy: 10
; WaveLimiterHint : 0
; COMPUTE_PGM_RSRC2:SCRATCH_EN: 0
; COMPUTE_PGM_RSRC2:USER_SGPR: 15
; COMPUTE_PGM_RSRC2:TRAP_HANDLER: 0
; COMPUTE_PGM_RSRC2:TGID_X_EN: 1
; COMPUTE_PGM_RSRC2:TGID_Y_EN: 0
; COMPUTE_PGM_RSRC2:TGID_Z_EN: 0
; COMPUTE_PGM_RSRC2:TIDIG_COMP_CNT: 0
	.text
	.protected	SortSinglePassKVKernel  ; -- Begin function SortSinglePassKVKernel
	.globl	SortSinglePassKVKernel
	.p2align	8
	.type	SortSinglePassKVKernel,@function
SortSinglePassKVKernel:                 ; @SortSinglePassKVKernel
; %bb.0:
	s_cmp_lg_u32 s15, 0
	s_cbranch_scc0 .LBB1_2
.LBB1_1:
	s_nop 0
	s_sendmsg sendmsg(MSG_DEALLOC_VGPRS)
	s_endpgm
.LBB1_2:
	s_clause 0x1
	s_load_b128 s[44:47], s[0:1], 0x20
	s_load_b256 s[36:43], s[0:1], 0x0
	v_mul_u32_u24_e32 v48, 24, v0
	v_dual_mov_b32 v2, -1 :: v_dual_mov_b32 v1, -1
	s_delay_alu instid0(VALU_DEP_2)
	v_dual_mov_b32 v5, -1 :: v_dual_lshlrev_b32 v56, 2, v48
	s_waitcnt lgkmcnt(0)
	v_cmp_gt_i32_e32 vcc_lo, s44, v48
	s_and_saveexec_b32 s0, vcc_lo
; %bb.3:
	s_clause 0x1
	global_load_b32 v1, v56, s[36:37]
	global_load_b32 v5, v56, s[38:39]
; %bb.4:
	s_or_b32 exec_lo, exec_lo, s0
	v_or_b32_e32 v3, 1, v48
	v_dual_mov_b32 v6, -1 :: v_dual_add_nc_u32 v57, 0x3000, v56
	s_waitcnt vmcnt(0)
	ds_store_2addr_stride64_b32 v56, v1, v5 offset1:48
	v_cmp_gt_i32_e64 s0, s44, v3
	s_delay_alu instid0(VALU_DEP_1)
	s_and_saveexec_b32 s1, s0
; %bb.5:
	s_clause 0x1
	global_load_b32 v2, v56, s[36:37] offset:4
	global_load_b32 v6, v56, s[38:39] offset:4
; %bb.6:
	s_or_b32 exec_lo, exec_lo, s1
	v_or_b32_e32 v7, 2, v48
	v_dual_mov_b32 v4, -1 :: v_dual_mov_b32 v3, -1
	s_waitcnt vmcnt(1)
	ds_store_b32 v56, v2 offset:4
	s_waitcnt vmcnt(0)
	ds_store_b32 v57, v6 offset:4
	v_cmp_gt_i32_e64 s1, s44, v7
	v_mov_b32_e32 v7, -1
	s_delay_alu instid0(VALU_DEP_2)
	s_and_saveexec_b32 s2, s1
; %bb.7:
	s_clause 0x1
	global_load_b32 v3, v56, s[36:37] offset:8
	global_load_b32 v7, v56, s[38:39] offset:8
; %bb.8:
	s_or_b32 exec_lo, exec_lo, s2
	v_or_b32_e32 v8, 3, v48
	s_waitcnt vmcnt(1)
	ds_store_b32 v56, v3 offset:8
	s_waitcnt vmcnt(0)
	ds_store_b32 v57, v7 offset:8
	v_cmp_gt_i32_e64 s2, s44, v8
	v_mov_b32_e32 v8, -1
	s_delay_alu instid0(VALU_DEP_2)
	s_and_saveexec_b32 s3, s2
; %bb.9:
	s_clause 0x1
	global_load_b32 v4, v56, s[36:37] offset:12
	global_load_b32 v8, v56, s[38:39] offset:12
; %bb.10:
	s_or_b32 exec_lo, exec_lo, s3
	v_or_b32_e32 v11, 4, v48
	v_dual_mov_b32 v10, -1 :: v_dual_mov_b32 v9, -1
	v_mov_b32_e32 v13, -1
	s_waitcnt vmcnt(1)
	ds_store_b32 v56, v4 offset:12
	s_waitcnt vmcnt(0)
	ds_store_b32 v57, v8 offset:12
	v_cmp_gt_i32_e64 s3, s44, v11
	s_delay_alu instid0(VALU_DEP_1)
	s_and_saveexec_b32 s4, s3
; %bb.11:
	s_clause 0x1
	global_load_b32 v9, v56, s[36:37] offset:16
	global_load_b32 v13, v56, s[38:39] offset:16
; %bb.12:
	s_or_b32 exec_lo, exec_lo, s4
	v_or_b32_e32 v11, 5, v48
	v_mov_b32_e32 v14, -1
	s_waitcnt vmcnt(1)
	ds_store_b32 v56, v9 offset:16
	s_waitcnt vmcnt(0)
	ds_store_b32 v57, v13 offset:16
	v_cmp_gt_i32_e64 s4, s44, v11
	s_delay_alu instid0(VALU_DEP_1)
	s_and_saveexec_b32 s5, s4
; %bb.13:
	s_clause 0x1
	global_load_b32 v10, v56, s[36:37] offset:20
	global_load_b32 v14, v56, s[38:39] offset:20
; %bb.14:
	s_or_b32 exec_lo, exec_lo, s5
	v_or_b32_e32 v15, 6, v48
	v_dual_mov_b32 v12, -1 :: v_dual_mov_b32 v11, -1
	s_waitcnt vmcnt(1)
	ds_store_b32 v56, v10 offset:20
	s_waitcnt vmcnt(0)
	ds_store_b32 v57, v14 offset:20
	v_cmp_gt_i32_e64 s5, s44, v15
	v_mov_b32_e32 v15, -1
	s_delay_alu instid0(VALU_DEP_2)
	s_and_saveexec_b32 s6, s5
; %bb.15:
	s_clause 0x1
	global_load_b32 v11, v56, s[36:37] offset:24
	global_load_b32 v15, v56, s[38:39] offset:24
; %bb.16:
	s_or_b32 exec_lo, exec_lo, s6
	v_or_b32_e32 v16, 7, v48
	s_waitcnt vmcnt(1)
	ds_store_b32 v56, v11 offset:24
	s_waitcnt vmcnt(0)
	ds_store_b32 v57, v15 offset:24
	v_cmp_gt_i32_e64 s6, s44, v16
	v_mov_b32_e32 v16, -1
	s_delay_alu instid0(VALU_DEP_2)
	s_and_saveexec_b32 s7, s6
; %bb.17:
	s_clause 0x1
	global_load_b32 v12, v56, s[36:37] offset:28
	global_load_b32 v16, v56, s[38:39] offset:28
; %bb.18:
	s_or_b32 exec_lo, exec_lo, s7
	v_dual_mov_b32 v18, -1 :: v_dual_add_nc_u32 v19, 8, v48
	v_mov_b32_e32 v17, -1
	v_mov_b32_e32 v21, -1
	s_waitcnt vmcnt(1)
	ds_store_b32 v56, v12 offset:28
	s_waitcnt vmcnt(0)
	ds_store_b32 v57, v16 offset:28
	v_cmp_gt_i32_e64 s7, s44, v19
	s_delay_alu instid0(VALU_DEP_1)
	s_and_saveexec_b32 s8, s7
; %bb.19:
	s_clause 0x1
	global_load_b32 v17, v56, s[36:37] offset:32
	global_load_b32 v21, v56, s[38:39] offset:32
; %bb.20:
	s_or_b32 exec_lo, exec_lo, s8
	v_dual_mov_b32 v22, -1 :: v_dual_add_nc_u32 v19, 9, v48
	s_waitcnt vmcnt(1)
	ds_store_b32 v56, v17 offset:32
	s_waitcnt vmcnt(0)
	ds_store_b32 v57, v21 offset:32
	v_cmp_gt_i32_e64 s8, s44, v19
	s_delay_alu instid0(VALU_DEP_1)
	s_and_saveexec_b32 s9, s8
; %bb.21:
	s_clause 0x1
	global_load_b32 v18, v56, s[36:37] offset:36
	global_load_b32 v22, v56, s[38:39] offset:36
; %bb.22:
	s_or_b32 exec_lo, exec_lo, s9
	v_dual_mov_b32 v20, -1 :: v_dual_add_nc_u32 v23, 10, v48
	v_mov_b32_e32 v19, -1
	s_waitcnt vmcnt(1)
	ds_store_b32 v56, v18 offset:36
	s_waitcnt vmcnt(0)
	ds_store_b32 v57, v22 offset:36
	v_cmp_gt_i32_e64 s9, s44, v23
	v_mov_b32_e32 v23, -1
	s_delay_alu instid0(VALU_DEP_2)
	s_and_saveexec_b32 s10, s9
; %bb.23:
	s_clause 0x1
	global_load_b32 v19, v56, s[36:37] offset:40
	global_load_b32 v23, v56, s[38:39] offset:40
; %bb.24:
	s_or_b32 exec_lo, exec_lo, s10
	v_add_nc_u32_e32 v24, 11, v48
	s_waitcnt vmcnt(1)
	ds_store_b32 v56, v19 offset:40
	s_waitcnt vmcnt(0)
	ds_store_b32 v57, v23 offset:40
	v_cmp_gt_i32_e64 s10, s44, v24
	v_mov_b32_e32 v24, -1
	s_delay_alu instid0(VALU_DEP_2)
	s_and_saveexec_b32 s11, s10
; %bb.25:
	s_clause 0x1
	global_load_b32 v20, v56, s[36:37] offset:44
	global_load_b32 v24, v56, s[38:39] offset:44
; %bb.26:
	s_or_b32 exec_lo, exec_lo, s11
	v_dual_mov_b32 v26, -1 :: v_dual_add_nc_u32 v27, 12, v48
	v_mov_b32_e32 v25, -1
	v_mov_b32_e32 v29, -1
	s_waitcnt vmcnt(1)
	ds_store_b32 v56, v20 offset:44
	s_waitcnt vmcnt(0)
	ds_store_b32 v57, v24 offset:44
	v_cmp_gt_i32_e64 s11, s44, v27
	s_delay_alu instid0(VALU_DEP_1)
	s_and_saveexec_b32 s12, s11
; %bb.27:
	s_clause 0x1
	global_load_b32 v25, v56, s[36:37] offset:48
	global_load_b32 v29, v56, s[38:39] offset:48
; %bb.28:
	s_or_b32 exec_lo, exec_lo, s12
	v_dual_mov_b32 v30, -1 :: v_dual_add_nc_u32 v27, 13, v48
	s_waitcnt vmcnt(1)
	ds_store_b32 v56, v25 offset:48
	s_waitcnt vmcnt(0)
	ds_store_b32 v57, v29 offset:48
	v_cmp_gt_i32_e64 s12, s44, v27
	s_delay_alu instid0(VALU_DEP_1)
	s_and_saveexec_b32 s13, s12
; %bb.29:
	s_clause 0x1
	global_load_b32 v26, v56, s[36:37] offset:52
	global_load_b32 v30, v56, s[38:39] offset:52
; %bb.30:
	s_or_b32 exec_lo, exec_lo, s13
	v_dual_mov_b32 v28, -1 :: v_dual_add_nc_u32 v31, 14, v48
	v_mov_b32_e32 v27, -1
	s_waitcnt vmcnt(1)
	ds_store_b32 v56, v26 offset:52
	s_waitcnt vmcnt(0)
	ds_store_b32 v57, v30 offset:52
	v_cmp_gt_i32_e64 s13, s44, v31
	v_mov_b32_e32 v31, -1
	s_delay_alu instid0(VALU_DEP_2)
	s_and_saveexec_b32 s14, s13
; %bb.31:
	s_clause 0x1
	global_load_b32 v27, v56, s[36:37] offset:56
	global_load_b32 v31, v56, s[38:39] offset:56
; %bb.32:
	s_or_b32 exec_lo, exec_lo, s14
	v_add_nc_u32_e32 v32, 15, v48
	;; [unrolled: 61-line block ×4, first 2 shown]
	s_waitcnt vmcnt(1)
	ds_store_b32 v56, v43 offset:88
	s_waitcnt vmcnt(0)
	ds_store_b32 v57, v47 offset:88
	v_cmp_gt_i32_e64 s22, s44, v48
	v_mov_b32_e32 v48, -1
	s_delay_alu instid0(VALU_DEP_2)
	s_and_saveexec_b32 s23, s22
; %bb.49:
	s_clause 0x1
	global_load_b32 v44, v56, s[36:37] offset:92
	global_load_b32 v48, v56, s[38:39] offset:92
; %bb.50:
	s_or_b32 exec_lo, exec_lo, s23
	s_cmp_lt_i32 s45, s46
	s_waitcnt vmcnt(1)
	ds_store_b32 v56, v44 offset:92
	s_waitcnt vmcnt(0)
	ds_store_b32 v57, v48 offset:92
	s_waitcnt lgkmcnt(0)
	s_barrier
	buffer_gl0_inv
	s_cbranch_scc0 .LBB1_325
; %bb.51:
	s_mov_b32 s34, 0
	v_lshl_add_u32 v58, v0, 5, 0x6000
	s_mov_b32 s36, s34
	s_mov_b32 s37, s34
	s_delay_alu instid0(SALU_CYCLE_1) | instskip(SKIP_3) | instid1(VALU_DEP_3)
	v_dual_mov_b32 v52, s37 :: v_dual_lshlrev_b32 v49, 1, v0
	s_mov_b32 s35, s34
	v_lshlrev_b32_e32 v54, 3, v0
	v_mul_i32_i24_e32 v55, 0xffffffe4, v0
	v_or_b32_e32 v50, 1, v49
	v_add_nc_u32_e32 v49, 2, v49
	v_cmp_gt_u32_e64 s23, 64, v0
	v_cmp_gt_u32_e64 s24, 32, v0
	;; [unrolled: 1-line block ×3, first 2 shown]
	v_lshlrev_b32_e32 v61, 4, v50
	v_dual_mov_b32 v51, s36 :: v_dual_lshlrev_b32 v60, 4, v49
	v_dual_mov_b32 v53, 0 :: v_dual_lshlrev_b32 v62, 5, v49
	v_lshlrev_b32_e32 v63, 5, v50
	v_lshlrev_b32_e32 v64, 6, v49
	;; [unrolled: 1-line block ×11, first 2 shown]
	v_dual_mov_b32 v50, s35 :: v_dual_mov_b32 v49, s34
	v_add_nc_u32_e32 v59, 0x7020, v54
	v_cmp_gt_u32_e64 s26, 8, v0
	v_cmp_gt_u32_e64 s27, 4, v0
	;; [unrolled: 1-line block ×3, first 2 shown]
	v_cmp_eq_u32_e64 s29, 0, v0
	v_lshl_or_b32 v70, v0, 2, 0x7000
	v_add_nc_u32_e32 v75, v59, v54
	v_add_nc_u32_e32 v76, v58, v55
	s_branch .LBB1_53
.LBB1_52:                               ;   in Loop: Header=BB1_53 Depth=1
	s_or_b32 exec_lo, exec_lo, s30
	s_waitcnt lgkmcnt(0)
	s_barrier
	buffer_gl0_inv
	s_barrier
	buffer_gl0_inv
	;; [unrolled: 2-line block ×3, first 2 shown]
	ds_load_u16 v54, v81
	v_lshl_or_b32 v55, v78, 3, v80
	v_lshl_or_b32 v78, v82, 3, v84
	s_add_i32 s45, s31, 4
	s_delay_alu instid0(SALU_CYCLE_1)
	s_cmp_ge_i32 s45, s46
	ds_load_u16 v55, v55 offset:28672
	s_waitcnt lgkmcnt(1)
	v_add_nc_u16 v77, v54, 1
	v_and_b32_e32 v54, 0xffff, v54
	ds_store_b16 v81, v77
	ds_load_u16 v77, v83
	ds_load_u16 v78, v78 offset:28672
	v_lshl_or_b32 v81, v85, 3, v87
	v_lshl_or_b32 v85, v91, 3, v93
	;; [unrolled: 1-line block ×7, first 2 shown]
	s_waitcnt lgkmcnt(3)
	v_add_lshl_u32 v54, v54, v55, 2
	v_lshl_or_b32 v121, v147, 3, v148
	ds_store_2addr_stride64_b32 v54, v0, v44 offset1:48
	s_waitcnt lgkmcnt(2)
	v_add_nc_u16 v80, v77, 1
	v_and_b32_e32 v77, 0xffff, v77
	ds_store_b16 v83, v80
	ds_load_u16 v80, v86
	ds_load_u16 v81, v81 offset:28672
	v_lshl_or_b32 v83, v88, 3, v90
	s_waitcnt lgkmcnt(4)
	v_add_lshl_u32 v77, v77, v78, 2
	ds_store_2addr_stride64_b32 v77, v1, v45 offset1:48
	s_waitcnt lgkmcnt(2)
	v_add_nc_u16 v82, v80, 1
	v_and_b32_e32 v0, 0xffff, v80
	ds_store_b16 v86, v82
	ds_load_u16 v82, v89
	ds_load_u16 v83, v83 offset:28672
	s_waitcnt lgkmcnt(4)
	v_add_lshl_u32 v0, v0, v81, 2
	s_waitcnt lgkmcnt(1)
	v_add_nc_u16 v84, v82, 1
	v_and_b32_e32 v44, 0xffff, v82
	ds_store_b16 v89, v84
	ds_load_u16 v84, v92
	ds_load_u16 v85, v85 offset:28672
	v_lshl_or_b32 v89, v97, 3, v100
	v_lshl_or_b32 v97, v110, 3, v112
	;; [unrolled: 1-line block ×5, first 2 shown]
	s_waitcnt lgkmcnt(3)
	v_add_lshl_u32 v44, v44, v83, 2
	s_waitcnt lgkmcnt(1)
	v_add_nc_u16 v86, v84, 1
	v_and_b32_e32 v54, 0xffff, v84
	ds_store_b16 v92, v86
	ds_load_u16 v86, v95
	ds_load_u16 v87, v87 offset:28672
	s_waitcnt lgkmcnt(3)
	v_add_lshl_u32 v54, v54, v85, 2
	s_waitcnt lgkmcnt(1)
	v_add_nc_u16 v88, v86, 1
	v_and_b32_e32 v78, 0xffff, v86
	ds_store_b16 v95, v88
	ds_load_u16 v88, v99
	ds_load_u16 v89, v89 offset:28672
	v_lshl_or_b32 v95, v107, 3, v109
	s_waitcnt lgkmcnt(3)
	v_add_lshl_u32 v1, v78, v87, 2
	s_waitcnt lgkmcnt(1)
	v_add_nc_u16 v90, v88, 1
	ds_store_b16 v99, v90
	ds_load_u16 v90, v102
	ds_load_u16 v91, v91 offset:28672
	s_waitcnt lgkmcnt(1)
	v_add_nc_u16 v92, v90, 1
	ds_store_b16 v102, v92
	ds_load_u16 v92, v105
	ds_load_u16 v93, v93 offset:28672
	v_lshl_or_b32 v102, v116, 3, v118
	v_lshl_or_b32 v116, v138, 3, v140
	;; [unrolled: 1-line block ×3, first 2 shown]
	s_waitcnt lgkmcnt(1)
	v_add_nc_u16 v94, v92, 1
	ds_store_b16 v105, v94
	ds_load_u16 v94, v108
	ds_load_u16 v95, v95 offset:28672
	s_waitcnt lgkmcnt(1)
	v_add_nc_u16 v96, v94, 1
	ds_store_b16 v108, v96
	ds_load_u16 v96, v111
	ds_load_u16 v97, v97 offset:28672
	v_lshl_or_b32 v108, v125, 3, v127
	s_waitcnt lgkmcnt(1)
	v_add_nc_u16 v99, v96, 1
	ds_store_b16 v111, v99
	ds_load_u16 v99, v114
	ds_load_u16 v100, v100 offset:28672
	s_waitcnt lgkmcnt(1)
	v_add_nc_u16 v101, v99, 1
	ds_store_b16 v114, v101
	ds_load_u16 v101, v117
	ds_load_u16 v102, v102 offset:28672
	v_lshl_or_b32 v114, v134, 3, v137
	;; [unrolled: 11-line block ×3, first 2 shown]
	s_waitcnt lgkmcnt(1)
	v_add_nc_u16 v107, v105, 1
	ds_store_b16 v123, v107
	ds_load_u16 v107, v126
	ds_load_u16 v108, v108 offset:28672
	s_waitcnt lgkmcnt(1)
	v_add_nc_u16 v109, v107, 1
	ds_store_b16 v126, v109
	ds_load_u16 v109, v129
	ds_load_u16 v110, v110 offset:28672
	;; [unrolled: 5-line block ×7, first 2 shown]
	ds_store_2addr_stride64_b32 v0, v2, v46 offset1:48
	ds_store_2addr_stride64_b32 v44, v3, v47 offset1:48
	;; [unrolled: 1-line block ×3, first 2 shown]
	v_lshl_or_b32 v120, v144, 3, v146
	ds_store_2addr_stride64_b32 v1, v5, v41 offset1:48
	v_and_b32_e32 v1, 0xffff, v88
	v_and_b32_e32 v2, 0xffff, v90
	;; [unrolled: 1-line block ×5, first 2 shown]
	v_add_lshl_u32 v1, v1, v89, 2
	v_add_lshl_u32 v2, v2, v91, 2
	;; [unrolled: 1-line block ×3, first 2 shown]
	s_waitcnt lgkmcnt(5)
	v_add_nc_u16 v0, v119, 1
	ds_store_b16 v98, v0
	ds_load_u16 v0, v120 offset:28672
	ds_load_u16 v4, v79
	ds_store_2addr_stride64_b32 v1, v6, v42 offset1:48
	ds_store_2addr_stride64_b32 v2, v7, v43 offset1:48
	;; [unrolled: 1-line block ×3, first 2 shown]
	v_add_lshl_u32 v1, v5, v95, 2
	v_and_b32_e32 v3, 0xffff, v99
	v_and_b32_e32 v6, 0xffff, v103
	v_add_lshl_u32 v2, v40, v97, 2
	v_and_b32_e32 v5, 0xffff, v101
	ds_store_2addr_stride64_b32 v1, v9, v37 offset1:48
	ds_store_2addr_stride64_b32 v2, v10, v38 offset1:48
	v_add_lshl_u32 v1, v3, v100, 2
	v_add_lshl_u32 v3, v6, v104, 2
	;; [unrolled: 1-line block ×3, first 2 shown]
	v_and_b32_e32 v5, 0xffff, v105
	ds_store_2addr_stride64_b32 v1, v11, v39 offset1:48
	ds_store_2addr_stride64_b32 v2, v12, v32 offset1:48
	;; [unrolled: 1-line block ×3, first 2 shown]
	v_and_b32_e32 v7, 0xffff, v111
	v_add_lshl_u32 v1, v5, v106, 2
	v_and_b32_e32 v5, 0xffff, v107
	s_waitcnt lgkmcnt(8)
	v_add_nc_u16 v6, v4, 1
	v_and_b32_e32 v8, 0xffff, v115
	v_add_lshl_u32 v7, v7, v112, 2
	v_and_b32_e32 v4, 0xffff, v4
	v_add_lshl_u32 v5, v5, v108, 2
	ds_store_b16 v79, v6
	ds_load_u16 v2, v121 offset:28672
	ds_load_u16 v3, v48
	v_and_b32_e32 v6, 0xffff, v109
	ds_store_2addr_stride64_b32 v1, v14, v34 offset1:48
	v_and_b32_e32 v1, 0xffff, v113
	v_add_lshl_u32 v0, v4, v0, 2
	v_add_lshl_u32 v6, v6, v110, 2
	ds_store_2addr_stride64_b32 v5, v15, v35 offset1:48
	ds_store_2addr_stride64_b32 v6, v16, v28 offset1:48
	;; [unrolled: 1-line block ×3, first 2 shown]
	v_add_lshl_u32 v1, v1, v114, 2
	v_add_lshl_u32 v5, v8, v116, 2
	v_and_b32_e32 v6, 0xffff, v119
	ds_store_2addr_stride64_b32 v1, v18, v30 offset1:48
	v_and_b32_e32 v1, 0xffff, v117
	ds_store_2addr_stride64_b32 v5, v19, v31 offset1:48
	v_add_lshl_u32 v6, v6, v55, 2
	s_waitcnt lgkmcnt(6)
	v_and_b32_e32 v5, 0xffff, v3
	v_add_nc_u16 v3, v3, 1
	v_add_lshl_u32 v1, v1, v118, 2
	s_delay_alu instid0(VALU_DEP_3)
	v_add_lshl_u32 v2, v5, v2, 2
	ds_store_2addr_stride64_b32 v1, v20, v24 offset1:48
	ds_store_2addr_stride64_b32 v6, v21, v25 offset1:48
	;; [unrolled: 1-line block ×3, first 2 shown]
	ds_store_b16 v48, v3
	ds_store_2addr_stride64_b32 v2, v23, v27 offset1:48
	s_waitcnt lgkmcnt(0)
	s_barrier
	buffer_gl0_inv
	ds_load_b128 v[1:4], v56
	ds_load_b128 v[9:12], v56 offset:16
	ds_load_b128 v[17:20], v56 offset:32
	;; [unrolled: 1-line block ×3, first 2 shown]
	ds_load_b128 v[5:8], v57
	ds_load_b128 v[13:16], v57 offset:16
	ds_load_b128 v[21:24], v57 offset:32
	ds_load_b128 v[29:32], v57 offset:48
	ds_load_b128 v[33:36], v56 offset:64
	ds_load_b128 v[41:44], v56 offset:80
	ds_load_b128 v[37:40], v57 offset:64
	ds_load_b128 v[45:48], v57 offset:80
	s_cbranch_scc1 .LBB1_325
.LBB1_53:                               ; =>This Inner Loop Header: Depth=1
	s_waitcnt lgkmcnt(11)
	v_ashrrev_i32_e32 v0, s45, v1
	ds_store_2addr_b64 v58, v[49:50], v[51:52] offset1:1
	ds_store_2addr_b64 v58, v[49:50], v[51:52] offset0:2 offset1:3
	v_and_b32_e32 v54, 3, v0
	v_bfe_u32 v79, v0, 2, 2
	s_delay_alu instid0(VALU_DEP_2) | instskip(NEXT) | instid1(VALU_DEP_2)
	v_lshlrev_b32_e32 v81, 1, v54
	v_lshlrev_b32_e32 v0, 3, v79
	v_ashrrev_i32_e32 v54, s45, v2
	s_delay_alu instid0(VALU_DEP_2) | instskip(NEXT) | instid1(VALU_DEP_2)
	v_or3_b32 v80, v58, v0, v81
	v_and_b32_e32 v55, 3, v54
	v_bfe_u32 v82, v54, 2, 2
	ds_load_u16 v0, v80
	v_lshlrev_b32_e32 v84, 1, v55
	v_lshlrev_b32_e32 v54, 3, v82
	s_delay_alu instid0(VALU_DEP_1) | instskip(SKIP_1) | instid1(VALU_DEP_1)
	v_or3_b32 v83, v58, v54, v84
	v_ashrrev_i32_e32 v54, s45, v3
	v_and_b32_e32 v55, 3, v54
	v_bfe_u32 v85, v54, 2, 2
	s_delay_alu instid0(VALU_DEP_2) | instskip(NEXT) | instid1(VALU_DEP_2)
	v_lshlrev_b32_e32 v87, 1, v55
	v_lshlrev_b32_e32 v54, 3, v85
	s_waitcnt lgkmcnt(0)
	v_add_nc_u16 v0, v0, 1
	s_delay_alu instid0(VALU_DEP_2) | instskip(SKIP_3) | instid1(VALU_DEP_1)
	v_or3_b32 v86, v58, v54, v87
	ds_store_b16 v80, v0
	ds_load_u16 v0, v83
	v_ashrrev_i32_e32 v54, s45, v4
	v_and_b32_e32 v55, 3, v54
	v_bfe_u32 v88, v54, 2, 2
	s_delay_alu instid0(VALU_DEP_2) | instskip(NEXT) | instid1(VALU_DEP_2)
	v_lshlrev_b32_e32 v90, 1, v55
	v_lshlrev_b32_e32 v54, 3, v88
	s_delay_alu instid0(VALU_DEP_1) | instskip(SKIP_3) | instid1(VALU_DEP_2)
	v_or3_b32 v89, v58, v54, v90
	v_ashrrev_i32_e32 v54, s45, v9
	s_waitcnt lgkmcnt(0)
	v_add_nc_u16 v0, v0, 1
	v_and_b32_e32 v55, 3, v54
	v_bfe_u32 v91, v54, 2, 2
	ds_store_b16 v83, v0
	ds_load_u16 v0, v86
	v_lshlrev_b32_e32 v94, 1, v55
	v_lshlrev_b32_e32 v54, 3, v91
	s_delay_alu instid0(VALU_DEP_1) | instskip(SKIP_1) | instid1(VALU_DEP_1)
	v_or3_b32 v92, v58, v54, v94
	v_ashrrev_i32_e32 v54, s45, v10
	v_and_b32_e32 v55, 3, v54
	v_bfe_u32 v95, v54, 2, 2
	s_delay_alu instid0(VALU_DEP_2) | instskip(SKIP_2) | instid1(VALU_DEP_3)
	v_lshlrev_b32_e32 v97, 1, v55
	s_waitcnt lgkmcnt(0)
	v_add_nc_u16 v0, v0, 1
	v_lshlrev_b32_e32 v54, 3, v95
	ds_store_b16 v86, v0
	ds_load_u16 v0, v89
	v_or3_b32 v96, v58, v54, v97
	v_ashrrev_i32_e32 v54, s45, v11
	s_delay_alu instid0(VALU_DEP_1) | instskip(SKIP_1) | instid1(VALU_DEP_2)
	v_and_b32_e32 v55, 3, v54
	v_bfe_u32 v98, v54, 2, 2
	v_lshlrev_b32_e32 v100, 1, v55
	s_delay_alu instid0(VALU_DEP_2) | instskip(NEXT) | instid1(VALU_DEP_1)
	v_lshlrev_b32_e32 v54, 3, v98
	v_or3_b32 v99, v58, v54, v100
	v_ashrrev_i32_e32 v54, s45, v12
	s_waitcnt lgkmcnt(0)
	v_add_nc_u16 v0, v0, 1
	s_delay_alu instid0(VALU_DEP_2) | instskip(SKIP_4) | instid1(VALU_DEP_2)
	v_and_b32_e32 v55, 3, v54
	ds_store_b16 v89, v0
	ds_load_u16 v0, v92
	v_bfe_u32 v101, v54, 2, 2
	v_lshlrev_b32_e32 v103, 1, v55
	v_lshlrev_b32_e32 v54, 3, v101
	s_delay_alu instid0(VALU_DEP_1) | instskip(SKIP_1) | instid1(VALU_DEP_1)
	v_or3_b32 v102, v58, v54, v103
	v_ashrrev_i32_e32 v54, s45, v17
	v_and_b32_e32 v55, 3, v54
	v_bfe_u32 v104, v54, 2, 2
	s_waitcnt lgkmcnt(0)
	v_add_nc_u16 v0, v0, 1
	s_delay_alu instid0(VALU_DEP_3) | instskip(NEXT) | instid1(VALU_DEP_3)
	v_lshlrev_b32_e32 v106, 1, v55
	v_lshlrev_b32_e32 v54, 3, v104
	ds_store_b16 v92, v0
	ds_load_u16 v0, v96
	v_or3_b32 v105, v58, v54, v106
	v_ashrrev_i32_e32 v54, s45, v18
	s_delay_alu instid0(VALU_DEP_1) | instskip(SKIP_1) | instid1(VALU_DEP_2)
	v_and_b32_e32 v55, 3, v54
	v_bfe_u32 v107, v54, 2, 2
	v_lshlrev_b32_e32 v109, 1, v55
	s_delay_alu instid0(VALU_DEP_2) | instskip(NEXT) | instid1(VALU_DEP_1)
	v_lshlrev_b32_e32 v54, 3, v107
	v_or3_b32 v108, v58, v54, v109
	s_waitcnt lgkmcnt(0)
	v_add_nc_u16 v0, v0, 1
	v_ashrrev_i32_e32 v54, s45, v19
	ds_store_b16 v96, v0
	ds_load_u16 v0, v99
	v_and_b32_e32 v55, 3, v54
	v_bfe_u32 v110, v54, 2, 2
	s_delay_alu instid0(VALU_DEP_2) | instskip(NEXT) | instid1(VALU_DEP_2)
	v_lshlrev_b32_e32 v112, 1, v55
	v_lshlrev_b32_e32 v54, 3, v110
	s_delay_alu instid0(VALU_DEP_1) | instskip(SKIP_1) | instid1(VALU_DEP_1)
	v_or3_b32 v111, v58, v54, v112
	v_ashrrev_i32_e32 v54, s45, v20
	v_and_b32_e32 v55, 3, v54
	v_bfe_u32 v113, v54, 2, 2
	s_waitcnt lgkmcnt(0)
	v_add_nc_u16 v0, v0, 1
	s_delay_alu instid0(VALU_DEP_3) | instskip(NEXT) | instid1(VALU_DEP_3)
	v_lshlrev_b32_e32 v115, 1, v55
	v_lshlrev_b32_e32 v54, 3, v113
	ds_store_b16 v99, v0
	ds_load_u16 v0, v102
	v_or3_b32 v114, v58, v54, v115
	v_ashrrev_i32_e32 v54, s45, v25
	s_delay_alu instid0(VALU_DEP_1) | instskip(SKIP_1) | instid1(VALU_DEP_2)
	v_and_b32_e32 v55, 3, v54
	v_bfe_u32 v116, v54, 2, 2
	v_lshlrev_b32_e32 v118, 1, v55
	s_delay_alu instid0(VALU_DEP_2) | instskip(NEXT) | instid1(VALU_DEP_1)
	v_lshlrev_b32_e32 v54, 3, v116
	v_or3_b32 v117, v58, v54, v118
	s_waitcnt lgkmcnt(0)
	v_add_nc_u16 v0, v0, 1
	v_ashrrev_i32_e32 v54, s45, v26
	ds_store_b16 v102, v0
	ds_load_u16 v0, v105
	v_and_b32_e32 v55, 3, v54
	v_bfe_u32 v119, v54, 2, 2
	s_delay_alu instid0(VALU_DEP_2) | instskip(NEXT) | instid1(VALU_DEP_2)
	;; [unrolled: 31-line block ×4, first 2 shown]
	v_lshlrev_b32_e32 v140, 1, v55
	v_lshlrev_b32_e32 v54, 3, v138
	s_delay_alu instid0(VALU_DEP_1) | instskip(SKIP_1) | instid1(VALU_DEP_1)
	v_or3_b32 v139, v58, v54, v140
	v_ashrrev_i32_e32 v54, s45, v41
	v_and_b32_e32 v55, 3, v54
	v_bfe_u32 v141, v54, 2, 2
	s_waitcnt lgkmcnt(0)
	v_add_nc_u16 v0, v0, 1
	s_delay_alu instid0(VALU_DEP_3) | instskip(NEXT) | instid1(VALU_DEP_3)
	v_lshlrev_b32_e32 v142, 1, v55
	v_lshlrev_b32_e32 v54, 3, v141
	ds_store_b16 v117, v0
	ds_load_u16 v0, v120
	v_or3_b32 v135, v58, v54, v142
	v_ashrrev_i32_e32 v54, s45, v42
	s_delay_alu instid0(VALU_DEP_1) | instskip(SKIP_1) | instid1(VALU_DEP_2)
	v_and_b32_e32 v55, 3, v54
	v_bfe_u32 v143, v54, 2, 2
	v_lshlrev_b32_e32 v145, 1, v55
	s_delay_alu instid0(VALU_DEP_2) | instskip(SKIP_2) | instid1(VALU_DEP_2)
	v_lshlrev_b32_e32 v54, 3, v143
	s_waitcnt lgkmcnt(0)
	v_add_nc_u16 v0, v0, 1
	v_or3_b32 v93, v58, v54, v145
	v_ashrrev_i32_e32 v54, s45, v43
	ds_store_b16 v120, v0
	ds_load_u16 v0, v123
	v_and_b32_e32 v55, 3, v54
	v_bfe_u32 v144, v54, 2, 2
	s_delay_alu instid0(VALU_DEP_2) | instskip(NEXT) | instid1(VALU_DEP_2)
	v_lshlrev_b32_e32 v146, 1, v55
	v_lshlrev_b32_e32 v54, 3, v144
	s_delay_alu instid0(VALU_DEP_1) | instskip(SKIP_1) | instid1(VALU_DEP_1)
	v_or3_b32 v78, v58, v54, v146
	v_ashrrev_i32_e32 v54, s45, v44
	v_and_b32_e32 v55, 3, v54
	v_bfe_u32 v147, v54, 2, 2
	s_waitcnt lgkmcnt(0)
	v_add_nc_u16 v0, v0, 1
	s_delay_alu instid0(VALU_DEP_3) | instskip(NEXT) | instid1(VALU_DEP_3)
	v_lshlrev_b32_e32 v148, 1, v55
	v_lshlrev_b32_e32 v54, 3, v147
	ds_store_b16 v123, v0
	ds_load_u16 v0, v126
	s_waitcnt lgkmcnt(0)
	v_add_nc_u16 v0, v0, 1
	ds_store_b16 v126, v0
	ds_load_u16 v0, v129
	s_waitcnt lgkmcnt(0)
	v_add_nc_u16 v0, v0, 1
	;; [unrolled: 4-line block ×8, first 2 shown]
	v_or3_b32 v0, v58, v54, v148
	ds_store_b16 v78, v55
	ds_load_u16 v54, v0
	s_waitcnt lgkmcnt(0)
	v_add_nc_u16 v54, v54, 1
	ds_store_b16 v0, v54
	s_waitcnt lgkmcnt(0)
	s_barrier
	buffer_gl0_inv
	ds_load_b64 v[54:55], v58
	s_waitcnt lgkmcnt(0)
	ds_store_b64 v59, v[54:55]
	s_waitcnt lgkmcnt(0)
	s_barrier
	buffer_gl0_inv
	s_and_saveexec_b32 s31, s23
	s_cbranch_execz .LBB1_55
; %bb.54:                               ;   in Loop: Header=BB1_53 Depth=1
	ds_load_b128 v[149:152], v75
	s_waitcnt lgkmcnt(0)
	v_add_co_u32 v54, s30, v151, v149
	s_delay_alu instid0(VALU_DEP_1)
	v_add_co_ci_u32_e64 v55, s30, v152, v150, s30
	ds_store_b64 v75, v[54:55] offset:8
.LBB1_55:                               ;   in Loop: Header=BB1_53 Depth=1
	s_or_b32 exec_lo, exec_lo, s31
	s_waitcnt lgkmcnt(0)
	s_barrier
	buffer_gl0_inv
	s_and_saveexec_b32 s31, s24
	s_cbranch_execz .LBB1_57
; %bb.56:                               ;   in Loop: Header=BB1_53 Depth=1
	ds_load_b64 v[54:55], v61 offset:28696
	ds_load_b64 v[149:150], v60 offset:28696
	s_waitcnt lgkmcnt(0)
	v_add_co_u32 v54, s30, v149, v54
	s_delay_alu instid0(VALU_DEP_1)
	v_add_co_ci_u32_e64 v55, s30, v150, v55, s30
	ds_store_b64 v60, v[54:55] offset:28696
.LBB1_57:                               ;   in Loop: Header=BB1_53 Depth=1
	s_or_b32 exec_lo, exec_lo, s31
	s_waitcnt lgkmcnt(0)
	s_barrier
	buffer_gl0_inv
	s_and_saveexec_b32 s31, s25
	s_cbranch_execz .LBB1_59
; %bb.58:                               ;   in Loop: Header=BB1_53 Depth=1
	ds_load_b64 v[54:55], v63 offset:28696
	ds_load_b64 v[149:150], v62 offset:28696
	s_waitcnt lgkmcnt(0)
	v_add_co_u32 v54, s30, v149, v54
	s_delay_alu instid0(VALU_DEP_1)
	v_add_co_ci_u32_e64 v55, s30, v150, v55, s30
	ds_store_b64 v62, v[54:55] offset:28696
.LBB1_59:                               ;   in Loop: Header=BB1_53 Depth=1
	;; [unrolled: 15-line block ×5, first 2 shown]
	s_or_b32 exec_lo, exec_lo, s31
	v_add_nc_u32_e64 v77, 24, 0
	s_waitcnt lgkmcnt(0)
	s_barrier
	buffer_gl0_inv
	s_and_saveexec_b32 s31, s29
	s_cbranch_execz .LBB1_67
; %bb.66:                               ;   in Loop: Header=BB1_53 Depth=1
	ds_load_2addr_stride64_b64 v[149:152], v77 offset0:57 offset1:58
	s_waitcnt lgkmcnt(0)
	v_add_co_u32 v54, s30, v151, v149
	s_delay_alu instid0(VALU_DEP_1)
	v_add_co_ci_u32_e64 v55, s30, v152, v150, s30
	ds_store_b64 v53, v[54:55] offset:29720
.LBB1_67:                               ;   in Loop: Header=BB1_53 Depth=1
	s_or_b32 exec_lo, exec_lo, s31
	s_waitcnt lgkmcnt(0)
	s_barrier
	buffer_gl0_inv
	s_barrier
	buffer_gl0_inv
	s_and_saveexec_b32 s31, s29
	s_cbranch_execz .LBB1_69
; %bb.68:                               ;   in Loop: Header=BB1_53 Depth=1
	ds_load_b64 v[149:150], v53 offset:29720
	v_mov_b32_e32 v54, v53
	s_waitcnt lgkmcnt(0)
	ds_store_b64 v53, v[149:150] offset:29728
	s_waitcnt lgkmcnt(0)
	buffer_gl0_inv
	ds_store_b64 v53, v[53:54] offset:29720
	s_waitcnt lgkmcnt(0)
	buffer_gl0_inv
	ds_load_2addr_stride64_b64 v[149:152], v77 offset0:57 offset1:58
	s_waitcnt lgkmcnt(0)
	v_add_co_u32 v54, s30, v151, v149
	s_delay_alu instid0(VALU_DEP_1)
	v_add_co_ci_u32_e64 v55, s30, v152, v150, s30
	ds_store_2addr_stride64_b64 v77, v[151:152], v[54:55] offset0:57 offset1:58
.LBB1_69:                               ;   in Loop: Header=BB1_53 Depth=1
	s_or_b32 exec_lo, exec_lo, s31
	s_waitcnt lgkmcnt(0)
	s_barrier
	buffer_gl0_inv
	s_and_saveexec_b32 s31, s28
	s_cbranch_execz .LBB1_71
; %bb.70:                               ;   in Loop: Header=BB1_53 Depth=1
	ds_load_b64 v[54:55], v69 offset:28696
	ds_load_b64 v[149:150], v68 offset:28696
	s_waitcnt lgkmcnt(0)
	v_add_co_u32 v54, s30, v149, v54
	s_delay_alu instid0(VALU_DEP_1)
	v_add_co_ci_u32_e64 v55, s30, v150, v55, s30
	ds_store_b64 v69, v[149:150] offset:28696
	ds_store_b64 v68, v[54:55] offset:28696
.LBB1_71:                               ;   in Loop: Header=BB1_53 Depth=1
	s_or_b32 exec_lo, exec_lo, s31
	s_waitcnt lgkmcnt(0)
	s_barrier
	buffer_gl0_inv
	s_and_saveexec_b32 s31, s27
	s_cbranch_execz .LBB1_73
; %bb.72:                               ;   in Loop: Header=BB1_53 Depth=1
	ds_load_b64 v[54:55], v67 offset:28696
	ds_load_b64 v[149:150], v66 offset:28696
	s_waitcnt lgkmcnt(0)
	v_add_co_u32 v54, s30, v149, v54
	s_delay_alu instid0(VALU_DEP_1)
	v_add_co_ci_u32_e64 v55, s30, v150, v55, s30
	ds_store_b64 v67, v[149:150] offset:28696
	ds_store_b64 v66, v[54:55] offset:28696
.LBB1_73:                               ;   in Loop: Header=BB1_53 Depth=1
	;; [unrolled: 16-line block ×5, first 2 shown]
	s_or_b32 exec_lo, exec_lo, s31
	s_waitcnt lgkmcnt(0)
	s_barrier
	buffer_gl0_inv
	s_and_saveexec_b32 s31, s23
	s_cbranch_execz .LBB1_81
; %bb.80:                               ;   in Loop: Header=BB1_53 Depth=1
	ds_load_b128 v[149:152], v75
	s_waitcnt lgkmcnt(0)
	v_add_co_u32 v153, s30, v151, v149
	s_delay_alu instid0(VALU_DEP_1)
	v_add_co_ci_u32_e64 v154, s30, v152, v150, s30
	ds_store_b128 v75, v[151:154]
.LBB1_81:                               ;   in Loop: Header=BB1_53 Depth=1
	s_or_b32 exec_lo, exec_lo, s31
	s_waitcnt lgkmcnt(0)
	s_barrier
	buffer_gl0_inv
	s_barrier
	buffer_gl0_inv
	ds_load_b64 v[54:55], v53 offset:29728
	s_waitcnt lgkmcnt(0)
	s_barrier
	buffer_gl0_inv
	ds_load_b64 v[149:150], v59
	s_waitcnt lgkmcnt(0)
	ds_store_b64 v58, v[149:150]
	s_and_saveexec_b32 s30, s29
	s_cbranch_execz .LBB1_83
; %bb.82:                               ;   in Loop: Header=BB1_53 Depth=1
	ds_store_b64 v53, v[54:55] offset:28672
.LBB1_83:                               ;   in Loop: Header=BB1_53 Depth=1
	s_or_b32 exec_lo, exec_lo, s30
	ds_load_b64 v[54:55], v58 offset:8
	s_waitcnt lgkmcnt(0)
	ds_store_b64 v59, v[54:55]
	s_waitcnt lgkmcnt(0)
	s_barrier
	buffer_gl0_inv
	s_and_saveexec_b32 s31, s23
	s_cbranch_execz .LBB1_85
; %bb.84:                               ;   in Loop: Header=BB1_53 Depth=1
	ds_load_b128 v[149:152], v75
	s_waitcnt lgkmcnt(0)
	v_add_co_u32 v54, s30, v151, v149
	s_delay_alu instid0(VALU_DEP_1)
	v_add_co_ci_u32_e64 v55, s30, v152, v150, s30
	ds_store_b64 v75, v[54:55] offset:8
.LBB1_85:                               ;   in Loop: Header=BB1_53 Depth=1
	s_or_b32 exec_lo, exec_lo, s31
	s_waitcnt lgkmcnt(0)
	s_barrier
	buffer_gl0_inv
	s_and_saveexec_b32 s31, s24
	s_cbranch_execz .LBB1_87
; %bb.86:                               ;   in Loop: Header=BB1_53 Depth=1
	ds_load_b64 v[54:55], v61 offset:28696
	ds_load_b64 v[149:150], v60 offset:28696
	s_waitcnt lgkmcnt(0)
	v_add_co_u32 v54, s30, v149, v54
	s_delay_alu instid0(VALU_DEP_1)
	v_add_co_ci_u32_e64 v55, s30, v150, v55, s30
	ds_store_b64 v60, v[54:55] offset:28696
.LBB1_87:                               ;   in Loop: Header=BB1_53 Depth=1
	s_or_b32 exec_lo, exec_lo, s31
	s_waitcnt lgkmcnt(0)
	s_barrier
	buffer_gl0_inv
	s_and_saveexec_b32 s31, s25
	s_cbranch_execz .LBB1_89
; %bb.88:                               ;   in Loop: Header=BB1_53 Depth=1
	ds_load_b64 v[54:55], v63 offset:28696
	ds_load_b64 v[149:150], v62 offset:28696
	s_waitcnt lgkmcnt(0)
	v_add_co_u32 v54, s30, v149, v54
	s_delay_alu instid0(VALU_DEP_1)
	v_add_co_ci_u32_e64 v55, s30, v150, v55, s30
	ds_store_b64 v62, v[54:55] offset:28696
.LBB1_89:                               ;   in Loop: Header=BB1_53 Depth=1
	;; [unrolled: 15-line block ×5, first 2 shown]
	s_or_b32 exec_lo, exec_lo, s31
	s_waitcnt lgkmcnt(0)
	s_barrier
	buffer_gl0_inv
	s_and_saveexec_b32 s31, s29
	s_cbranch_execz .LBB1_97
; %bb.96:                               ;   in Loop: Header=BB1_53 Depth=1
	ds_load_2addr_stride64_b64 v[149:152], v77 offset0:57 offset1:58
	s_waitcnt lgkmcnt(0)
	v_add_co_u32 v54, s30, v151, v149
	s_delay_alu instid0(VALU_DEP_1)
	v_add_co_ci_u32_e64 v55, s30, v152, v150, s30
	ds_store_b64 v53, v[54:55] offset:29720
.LBB1_97:                               ;   in Loop: Header=BB1_53 Depth=1
	s_or_b32 exec_lo, exec_lo, s31
	s_waitcnt lgkmcnt(0)
	s_barrier
	buffer_gl0_inv
	s_barrier
	buffer_gl0_inv
	s_and_saveexec_b32 s31, s29
	s_cbranch_execz .LBB1_99
; %bb.98:                               ;   in Loop: Header=BB1_53 Depth=1
	ds_load_b64 v[149:150], v53 offset:29720
	v_mov_b32_e32 v54, v53
	s_waitcnt lgkmcnt(0)
	ds_store_b64 v53, v[149:150] offset:29728
	s_waitcnt lgkmcnt(0)
	buffer_gl0_inv
	ds_store_b64 v53, v[53:54] offset:29720
	s_waitcnt lgkmcnt(0)
	buffer_gl0_inv
	ds_load_2addr_stride64_b64 v[149:152], v77 offset0:57 offset1:58
	s_waitcnt lgkmcnt(0)
	v_add_co_u32 v54, s30, v151, v149
	s_delay_alu instid0(VALU_DEP_1)
	v_add_co_ci_u32_e64 v55, s30, v152, v150, s30
	ds_store_2addr_stride64_b64 v77, v[151:152], v[54:55] offset0:57 offset1:58
.LBB1_99:                               ;   in Loop: Header=BB1_53 Depth=1
	s_or_b32 exec_lo, exec_lo, s31
	s_waitcnt lgkmcnt(0)
	s_barrier
	buffer_gl0_inv
	s_and_saveexec_b32 s31, s28
	s_cbranch_execz .LBB1_101
; %bb.100:                              ;   in Loop: Header=BB1_53 Depth=1
	ds_load_b64 v[54:55], v69 offset:28696
	ds_load_b64 v[149:150], v68 offset:28696
	s_waitcnt lgkmcnt(0)
	v_add_co_u32 v54, s30, v149, v54
	s_delay_alu instid0(VALU_DEP_1)
	v_add_co_ci_u32_e64 v55, s30, v150, v55, s30
	ds_store_b64 v69, v[149:150] offset:28696
	ds_store_b64 v68, v[54:55] offset:28696
.LBB1_101:                              ;   in Loop: Header=BB1_53 Depth=1
	s_or_b32 exec_lo, exec_lo, s31
	s_waitcnt lgkmcnt(0)
	s_barrier
	buffer_gl0_inv
	s_and_saveexec_b32 s31, s27
	s_cbranch_execz .LBB1_103
; %bb.102:                              ;   in Loop: Header=BB1_53 Depth=1
	ds_load_b64 v[54:55], v67 offset:28696
	ds_load_b64 v[149:150], v66 offset:28696
	s_waitcnt lgkmcnt(0)
	v_add_co_u32 v54, s30, v149, v54
	s_delay_alu instid0(VALU_DEP_1)
	v_add_co_ci_u32_e64 v55, s30, v150, v55, s30
	ds_store_b64 v67, v[149:150] offset:28696
	ds_store_b64 v66, v[54:55] offset:28696
.LBB1_103:                              ;   in Loop: Header=BB1_53 Depth=1
	;; [unrolled: 16-line block ×5, first 2 shown]
	s_or_b32 exec_lo, exec_lo, s31
	s_waitcnt lgkmcnt(0)
	s_barrier
	buffer_gl0_inv
	s_and_saveexec_b32 s31, s23
	s_cbranch_execz .LBB1_111
; %bb.110:                              ;   in Loop: Header=BB1_53 Depth=1
	ds_load_b128 v[149:152], v75
	s_waitcnt lgkmcnt(0)
	v_add_co_u32 v153, s30, v151, v149
	s_delay_alu instid0(VALU_DEP_1)
	v_add_co_ci_u32_e64 v154, s30, v152, v150, s30
	ds_store_b128 v75, v[151:154]
.LBB1_111:                              ;   in Loop: Header=BB1_53 Depth=1
	s_or_b32 exec_lo, exec_lo, s31
	s_waitcnt lgkmcnt(0)
	s_barrier
	buffer_gl0_inv
	s_barrier
	buffer_gl0_inv
	ds_load_b64 v[54:55], v53 offset:29728
	s_waitcnt lgkmcnt(0)
	s_barrier
	buffer_gl0_inv
	ds_load_b64 v[149:150], v59
	s_waitcnt lgkmcnt(0)
	ds_store_b64 v58, v[149:150] offset:8
	s_and_saveexec_b32 s30, s29
	s_cbranch_execz .LBB1_113
; %bb.112:                              ;   in Loop: Header=BB1_53 Depth=1
	ds_store_b64 v53, v[54:55] offset:28680
.LBB1_113:                              ;   in Loop: Header=BB1_53 Depth=1
	s_or_b32 exec_lo, exec_lo, s30
	ds_load_b64 v[54:55], v58 offset:16
	s_waitcnt lgkmcnt(0)
	ds_store_b64 v59, v[54:55]
	s_waitcnt lgkmcnt(0)
	s_barrier
	buffer_gl0_inv
	s_and_saveexec_b32 s31, s23
	s_cbranch_execz .LBB1_115
; %bb.114:                              ;   in Loop: Header=BB1_53 Depth=1
	ds_load_b128 v[149:152], v75
	s_waitcnt lgkmcnt(0)
	v_add_co_u32 v54, s30, v151, v149
	s_delay_alu instid0(VALU_DEP_1)
	v_add_co_ci_u32_e64 v55, s30, v152, v150, s30
	ds_store_b64 v75, v[54:55] offset:8
.LBB1_115:                              ;   in Loop: Header=BB1_53 Depth=1
	s_or_b32 exec_lo, exec_lo, s31
	s_waitcnt lgkmcnt(0)
	s_barrier
	buffer_gl0_inv
	s_and_saveexec_b32 s31, s24
	s_cbranch_execz .LBB1_117
; %bb.116:                              ;   in Loop: Header=BB1_53 Depth=1
	ds_load_b64 v[54:55], v61 offset:28696
	ds_load_b64 v[149:150], v60 offset:28696
	s_waitcnt lgkmcnt(0)
	v_add_co_u32 v54, s30, v149, v54
	s_delay_alu instid0(VALU_DEP_1)
	v_add_co_ci_u32_e64 v55, s30, v150, v55, s30
	ds_store_b64 v60, v[54:55] offset:28696
.LBB1_117:                              ;   in Loop: Header=BB1_53 Depth=1
	s_or_b32 exec_lo, exec_lo, s31
	s_waitcnt lgkmcnt(0)
	s_barrier
	buffer_gl0_inv
	s_and_saveexec_b32 s31, s25
	s_cbranch_execz .LBB1_119
; %bb.118:                              ;   in Loop: Header=BB1_53 Depth=1
	ds_load_b64 v[54:55], v63 offset:28696
	ds_load_b64 v[149:150], v62 offset:28696
	s_waitcnt lgkmcnt(0)
	v_add_co_u32 v54, s30, v149, v54
	s_delay_alu instid0(VALU_DEP_1)
	v_add_co_ci_u32_e64 v55, s30, v150, v55, s30
	ds_store_b64 v62, v[54:55] offset:28696
.LBB1_119:                              ;   in Loop: Header=BB1_53 Depth=1
	;; [unrolled: 15-line block ×5, first 2 shown]
	s_or_b32 exec_lo, exec_lo, s31
	s_waitcnt lgkmcnt(0)
	s_barrier
	buffer_gl0_inv
	s_and_saveexec_b32 s31, s29
	s_cbranch_execz .LBB1_127
; %bb.126:                              ;   in Loop: Header=BB1_53 Depth=1
	ds_load_2addr_stride64_b64 v[149:152], v77 offset0:57 offset1:58
	s_waitcnt lgkmcnt(0)
	v_add_co_u32 v54, s30, v151, v149
	s_delay_alu instid0(VALU_DEP_1)
	v_add_co_ci_u32_e64 v55, s30, v152, v150, s30
	ds_store_b64 v53, v[54:55] offset:29720
.LBB1_127:                              ;   in Loop: Header=BB1_53 Depth=1
	s_or_b32 exec_lo, exec_lo, s31
	s_waitcnt lgkmcnt(0)
	s_barrier
	buffer_gl0_inv
	s_barrier
	buffer_gl0_inv
	s_and_saveexec_b32 s31, s29
	s_cbranch_execz .LBB1_129
; %bb.128:                              ;   in Loop: Header=BB1_53 Depth=1
	ds_load_b64 v[149:150], v53 offset:29720
	v_mov_b32_e32 v54, v53
	s_waitcnt lgkmcnt(0)
	ds_store_b64 v53, v[149:150] offset:29728
	s_waitcnt lgkmcnt(0)
	buffer_gl0_inv
	ds_store_b64 v53, v[53:54] offset:29720
	s_waitcnt lgkmcnt(0)
	buffer_gl0_inv
	ds_load_2addr_stride64_b64 v[149:152], v77 offset0:57 offset1:58
	s_waitcnt lgkmcnt(0)
	v_add_co_u32 v54, s30, v151, v149
	s_delay_alu instid0(VALU_DEP_1)
	v_add_co_ci_u32_e64 v55, s30, v152, v150, s30
	ds_store_2addr_stride64_b64 v77, v[151:152], v[54:55] offset0:57 offset1:58
.LBB1_129:                              ;   in Loop: Header=BB1_53 Depth=1
	s_or_b32 exec_lo, exec_lo, s31
	s_waitcnt lgkmcnt(0)
	s_barrier
	buffer_gl0_inv
	s_and_saveexec_b32 s31, s28
	s_cbranch_execz .LBB1_131
; %bb.130:                              ;   in Loop: Header=BB1_53 Depth=1
	ds_load_b64 v[54:55], v69 offset:28696
	ds_load_b64 v[149:150], v68 offset:28696
	s_waitcnt lgkmcnt(0)
	v_add_co_u32 v54, s30, v149, v54
	s_delay_alu instid0(VALU_DEP_1)
	v_add_co_ci_u32_e64 v55, s30, v150, v55, s30
	ds_store_b64 v69, v[149:150] offset:28696
	ds_store_b64 v68, v[54:55] offset:28696
.LBB1_131:                              ;   in Loop: Header=BB1_53 Depth=1
	s_or_b32 exec_lo, exec_lo, s31
	s_waitcnt lgkmcnt(0)
	s_barrier
	buffer_gl0_inv
	s_and_saveexec_b32 s31, s27
	s_cbranch_execz .LBB1_133
; %bb.132:                              ;   in Loop: Header=BB1_53 Depth=1
	ds_load_b64 v[54:55], v67 offset:28696
	ds_load_b64 v[149:150], v66 offset:28696
	s_waitcnt lgkmcnt(0)
	v_add_co_u32 v54, s30, v149, v54
	s_delay_alu instid0(VALU_DEP_1)
	v_add_co_ci_u32_e64 v55, s30, v150, v55, s30
	ds_store_b64 v67, v[149:150] offset:28696
	ds_store_b64 v66, v[54:55] offset:28696
.LBB1_133:                              ;   in Loop: Header=BB1_53 Depth=1
	;; [unrolled: 16-line block ×5, first 2 shown]
	s_or_b32 exec_lo, exec_lo, s31
	s_waitcnt lgkmcnt(0)
	s_barrier
	buffer_gl0_inv
	s_and_saveexec_b32 s31, s23
	s_cbranch_execz .LBB1_141
; %bb.140:                              ;   in Loop: Header=BB1_53 Depth=1
	ds_load_b128 v[149:152], v75
	s_waitcnt lgkmcnt(0)
	v_add_co_u32 v153, s30, v151, v149
	s_delay_alu instid0(VALU_DEP_1)
	v_add_co_ci_u32_e64 v154, s30, v152, v150, s30
	ds_store_b128 v75, v[151:154]
.LBB1_141:                              ;   in Loop: Header=BB1_53 Depth=1
	s_or_b32 exec_lo, exec_lo, s31
	s_waitcnt lgkmcnt(0)
	s_barrier
	buffer_gl0_inv
	s_barrier
	buffer_gl0_inv
	ds_load_b64 v[54:55], v53 offset:29728
	s_waitcnt lgkmcnt(0)
	s_barrier
	buffer_gl0_inv
	ds_load_b64 v[149:150], v59
	s_waitcnt lgkmcnt(0)
	ds_store_b64 v58, v[149:150] offset:16
	s_and_saveexec_b32 s30, s29
	s_cbranch_execz .LBB1_143
; %bb.142:                              ;   in Loop: Header=BB1_53 Depth=1
	ds_store_b64 v53, v[54:55] offset:28688
.LBB1_143:                              ;   in Loop: Header=BB1_53 Depth=1
	s_or_b32 exec_lo, exec_lo, s30
	ds_load_b64 v[54:55], v58 offset:24
	s_waitcnt lgkmcnt(0)
	ds_store_b64 v59, v[54:55]
	s_waitcnt lgkmcnt(0)
	s_barrier
	buffer_gl0_inv
	s_and_saveexec_b32 s31, s23
	s_cbranch_execz .LBB1_145
; %bb.144:                              ;   in Loop: Header=BB1_53 Depth=1
	ds_load_b128 v[149:152], v75
	s_waitcnt lgkmcnt(0)
	v_add_co_u32 v54, s30, v151, v149
	s_delay_alu instid0(VALU_DEP_1)
	v_add_co_ci_u32_e64 v55, s30, v152, v150, s30
	ds_store_b64 v75, v[54:55] offset:8
.LBB1_145:                              ;   in Loop: Header=BB1_53 Depth=1
	s_or_b32 exec_lo, exec_lo, s31
	s_waitcnt lgkmcnt(0)
	s_barrier
	buffer_gl0_inv
	s_and_saveexec_b32 s31, s24
	s_cbranch_execz .LBB1_147
; %bb.146:                              ;   in Loop: Header=BB1_53 Depth=1
	ds_load_b64 v[54:55], v61 offset:28696
	ds_load_b64 v[149:150], v60 offset:28696
	s_waitcnt lgkmcnt(0)
	v_add_co_u32 v54, s30, v149, v54
	s_delay_alu instid0(VALU_DEP_1)
	v_add_co_ci_u32_e64 v55, s30, v150, v55, s30
	ds_store_b64 v60, v[54:55] offset:28696
.LBB1_147:                              ;   in Loop: Header=BB1_53 Depth=1
	s_or_b32 exec_lo, exec_lo, s31
	s_waitcnt lgkmcnt(0)
	s_barrier
	buffer_gl0_inv
	s_and_saveexec_b32 s31, s25
	s_cbranch_execz .LBB1_149
; %bb.148:                              ;   in Loop: Header=BB1_53 Depth=1
	ds_load_b64 v[54:55], v63 offset:28696
	ds_load_b64 v[149:150], v62 offset:28696
	s_waitcnt lgkmcnt(0)
	v_add_co_u32 v54, s30, v149, v54
	s_delay_alu instid0(VALU_DEP_1)
	v_add_co_ci_u32_e64 v55, s30, v150, v55, s30
	ds_store_b64 v62, v[54:55] offset:28696
.LBB1_149:                              ;   in Loop: Header=BB1_53 Depth=1
	;; [unrolled: 15-line block ×5, first 2 shown]
	s_or_b32 exec_lo, exec_lo, s31
	s_waitcnt lgkmcnt(0)
	s_barrier
	buffer_gl0_inv
	s_and_saveexec_b32 s31, s29
	s_cbranch_execz .LBB1_157
; %bb.156:                              ;   in Loop: Header=BB1_53 Depth=1
	ds_load_2addr_stride64_b64 v[149:152], v77 offset0:57 offset1:58
	s_waitcnt lgkmcnt(0)
	v_add_co_u32 v54, s30, v151, v149
	s_delay_alu instid0(VALU_DEP_1)
	v_add_co_ci_u32_e64 v55, s30, v152, v150, s30
	ds_store_b64 v53, v[54:55] offset:29720
.LBB1_157:                              ;   in Loop: Header=BB1_53 Depth=1
	s_or_b32 exec_lo, exec_lo, s31
	s_waitcnt lgkmcnt(0)
	s_barrier
	buffer_gl0_inv
	s_barrier
	buffer_gl0_inv
	s_and_saveexec_b32 s31, s29
	s_cbranch_execz .LBB1_159
; %bb.158:                              ;   in Loop: Header=BB1_53 Depth=1
	ds_load_b64 v[149:150], v53 offset:29720
	v_mov_b32_e32 v54, v53
	s_waitcnt lgkmcnt(0)
	ds_store_b64 v53, v[149:150] offset:29728
	s_waitcnt lgkmcnt(0)
	buffer_gl0_inv
	ds_store_b64 v53, v[53:54] offset:29720
	s_waitcnt lgkmcnt(0)
	buffer_gl0_inv
	ds_load_2addr_stride64_b64 v[149:152], v77 offset0:57 offset1:58
	s_waitcnt lgkmcnt(0)
	v_add_co_u32 v54, s30, v151, v149
	s_delay_alu instid0(VALU_DEP_1)
	v_add_co_ci_u32_e64 v55, s30, v152, v150, s30
	ds_store_2addr_stride64_b64 v77, v[151:152], v[54:55] offset0:57 offset1:58
.LBB1_159:                              ;   in Loop: Header=BB1_53 Depth=1
	s_or_b32 exec_lo, exec_lo, s31
	s_waitcnt lgkmcnt(0)
	s_barrier
	buffer_gl0_inv
	s_and_saveexec_b32 s31, s28
	s_cbranch_execz .LBB1_161
; %bb.160:                              ;   in Loop: Header=BB1_53 Depth=1
	ds_load_b64 v[54:55], v69 offset:28696
	ds_load_b64 v[149:150], v68 offset:28696
	s_waitcnt lgkmcnt(0)
	v_add_co_u32 v54, s30, v149, v54
	s_delay_alu instid0(VALU_DEP_1)
	v_add_co_ci_u32_e64 v55, s30, v150, v55, s30
	ds_store_b64 v69, v[149:150] offset:28696
	ds_store_b64 v68, v[54:55] offset:28696
.LBB1_161:                              ;   in Loop: Header=BB1_53 Depth=1
	s_or_b32 exec_lo, exec_lo, s31
	s_waitcnt lgkmcnt(0)
	s_barrier
	buffer_gl0_inv
	s_and_saveexec_b32 s31, s27
	s_cbranch_execz .LBB1_163
; %bb.162:                              ;   in Loop: Header=BB1_53 Depth=1
	ds_load_b64 v[54:55], v67 offset:28696
	ds_load_b64 v[149:150], v66 offset:28696
	s_waitcnt lgkmcnt(0)
	v_add_co_u32 v54, s30, v149, v54
	s_delay_alu instid0(VALU_DEP_1)
	v_add_co_ci_u32_e64 v55, s30, v150, v55, s30
	ds_store_b64 v67, v[149:150] offset:28696
	ds_store_b64 v66, v[54:55] offset:28696
.LBB1_163:                              ;   in Loop: Header=BB1_53 Depth=1
	;; [unrolled: 16-line block ×5, first 2 shown]
	s_or_b32 exec_lo, exec_lo, s31
	s_waitcnt lgkmcnt(0)
	s_barrier
	buffer_gl0_inv
	s_and_saveexec_b32 s31, s23
	s_cbranch_execz .LBB1_171
; %bb.170:                              ;   in Loop: Header=BB1_53 Depth=1
	ds_load_b128 v[149:152], v75
	s_waitcnt lgkmcnt(0)
	v_add_co_u32 v153, s30, v151, v149
	s_delay_alu instid0(VALU_DEP_1)
	v_add_co_ci_u32_e64 v154, s30, v152, v150, s30
	ds_store_b128 v75, v[151:154]
.LBB1_171:                              ;   in Loop: Header=BB1_53 Depth=1
	s_or_b32 exec_lo, exec_lo, s31
	s_waitcnt lgkmcnt(0)
	s_barrier
	buffer_gl0_inv
	s_barrier
	buffer_gl0_inv
	ds_load_b64 v[54:55], v53 offset:29728
	s_waitcnt lgkmcnt(0)
	s_barrier
	buffer_gl0_inv
	ds_load_b64 v[149:150], v59
	s_waitcnt lgkmcnt(0)
	ds_store_b64 v58, v[149:150] offset:24
	s_and_saveexec_b32 s30, s29
	s_cbranch_execz .LBB1_173
; %bb.172:                              ;   in Loop: Header=BB1_53 Depth=1
	ds_store_b64 v53, v[54:55] offset:28696
.LBB1_173:                              ;   in Loop: Header=BB1_53 Depth=1
	s_or_b32 exec_lo, exec_lo, s30
	s_waitcnt lgkmcnt(0)
	s_barrier
	buffer_gl0_inv
	s_and_saveexec_b32 s30, s26
	s_delay_alu instid0(SALU_CYCLE_1)
	s_xor_b32 s30, exec_lo, s30
	s_cbranch_execz .LBB1_175
; %bb.174:                              ;   in Loop: Header=BB1_53 Depth=1
	ds_load_u16 v54, v76 offset:4096
	ds_load_u16 v55, v70 offset:2
	s_waitcnt lgkmcnt(0)
	v_add_nc_u16 v54, v55, v54
	ds_store_b16 v70, v54 offset:2
.LBB1_175:                              ;   in Loop: Header=BB1_53 Depth=1
	s_or_b32 exec_lo, exec_lo, s30
	s_waitcnt lgkmcnt(0)
	s_barrier
	buffer_gl0_inv
	s_and_saveexec_b32 s30, s27
	s_cbranch_execz .LBB1_177
; %bb.176:                              ;   in Loop: Header=BB1_53 Depth=1
	ds_load_u16 v54, v71 offset:28670
	ds_load_u16 v55, v72 offset:28670
	s_waitcnt lgkmcnt(0)
	v_add_nc_u16 v54, v55, v54
	ds_store_b16 v72, v54 offset:28670
.LBB1_177:                              ;   in Loop: Header=BB1_53 Depth=1
	s_or_b32 exec_lo, exec_lo, s30
	s_waitcnt lgkmcnt(0)
	s_barrier
	buffer_gl0_inv
	s_and_saveexec_b32 s30, s28
	;; [unrolled: 13-line block ×3, first 2 shown]
	s_cbranch_execz .LBB1_181
; %bb.180:                              ;   in Loop: Header=BB1_53 Depth=1
	ds_load_u16 v54, v53 offset:28686
	ds_load_u16 v55, v53 offset:28702
	s_waitcnt lgkmcnt(0)
	v_add_nc_u32_e32 v54, v55, v54
	ds_store_b16 v53, v54 offset:28702
.LBB1_181:                              ;   in Loop: Header=BB1_53 Depth=1
	s_or_b32 exec_lo, exec_lo, s30
	s_waitcnt lgkmcnt(0)
	s_barrier
	buffer_gl0_inv
	s_barrier
	buffer_gl0_inv
	s_and_saveexec_b32 s30, s29
	s_cbranch_execz .LBB1_183
; %bb.182:                              ;   in Loop: Header=BB1_53 Depth=1
	ds_load_u16 v54, v53 offset:28702
	s_waitcnt lgkmcnt(0)
	ds_store_b16 v53, v54 offset:29736
	s_waitcnt lgkmcnt(0)
	buffer_gl0_inv
	ds_store_b16 v53, v53 offset:28702
	s_waitcnt lgkmcnt(0)
	buffer_gl0_inv
	ds_load_u16 v54, v53 offset:28686
	ds_load_u16 v55, v53 offset:28702
	s_waitcnt lgkmcnt(0)
	v_add_nc_u32_e32 v54, v55, v54
	ds_store_b16 v53, v55 offset:28686
	ds_store_b16 v53, v54 offset:28702
.LBB1_183:                              ;   in Loop: Header=BB1_53 Depth=1
	s_or_b32 exec_lo, exec_lo, s30
	s_waitcnt lgkmcnt(0)
	s_barrier
	buffer_gl0_inv
	s_and_saveexec_b32 s30, s28
	s_cbranch_execz .LBB1_185
; %bb.184:                              ;   in Loop: Header=BB1_53 Depth=1
	ds_load_u16 v54, v73 offset:28670
	ds_load_u16 v55, v74 offset:28670
	s_waitcnt lgkmcnt(0)
	v_add_nc_u16 v54, v55, v54
	ds_store_b16 v73, v55 offset:28670
	ds_store_b16 v74, v54 offset:28670
.LBB1_185:                              ;   in Loop: Header=BB1_53 Depth=1
	s_or_b32 exec_lo, exec_lo, s30
	s_waitcnt lgkmcnt(0)
	s_barrier
	buffer_gl0_inv
	s_and_saveexec_b32 s30, s27
	s_cbranch_execz .LBB1_187
; %bb.186:                              ;   in Loop: Header=BB1_53 Depth=1
	ds_load_u16 v54, v71 offset:28670
	ds_load_u16 v55, v72 offset:28670
	s_waitcnt lgkmcnt(0)
	v_add_nc_u16 v54, v55, v54
	ds_store_b16 v71, v55 offset:28670
	ds_store_b16 v72, v54 offset:28670
.LBB1_187:                              ;   in Loop: Header=BB1_53 Depth=1
	;; [unrolled: 14-line block ×3, first 2 shown]
	s_or_b32 exec_lo, exec_lo, s30
	s_waitcnt lgkmcnt(0)
	s_barrier
	buffer_gl0_inv
	s_barrier
	buffer_gl0_inv
	s_barrier
	buffer_gl0_inv
	ds_load_u16 v54, v80
	v_lshl_or_b32 v55, v79, 3, v81
	s_add_i32 s31, s45, 4
	ds_load_u16 v55, v55 offset:28672
	s_waitcnt lgkmcnt(1)
	v_add_nc_u16 v79, v54, 1
	v_and_b32_e32 v54, 0xffff, v54
	ds_store_b16 v80, v79
	ds_load_u16 v79, v83
	v_lshl_or_b32 v80, v82, 3, v84
	v_lshl_or_b32 v82, v85, 3, v87
	;; [unrolled: 1-line block ×5, first 2 shown]
	ds_load_u16 v80, v80 offset:28672
	v_lshl_or_b32 v95, v104, 3, v106
	v_lshl_or_b32 v97, v107, 3, v109
	;; [unrolled: 1-line block ×4, first 2 shown]
	s_waitcnt lgkmcnt(3)
	v_add_lshl_u32 v54, v54, v55, 2
	v_lshl_or_b32 v122, v147, 3, v148
	ds_store_2addr_stride64_b32 v54, v1, v5 offset1:48
	s_waitcnt lgkmcnt(2)
	v_add_nc_u16 v81, v79, 1
	v_and_b32_e32 v79, 0xffff, v79
	ds_store_b16 v83, v81
	ds_load_u16 v81, v86
	ds_load_u16 v82, v82 offset:28672
	s_waitcnt lgkmcnt(4)
	v_add_lshl_u32 v79, v79, v80, 2
	ds_store_2addr_stride64_b32 v79, v2, v6 offset1:48
	s_waitcnt lgkmcnt(2)
	v_add_nc_u16 v83, v81, 1
	v_and_b32_e32 v1, 0xffff, v81
	ds_store_b16 v86, v83
	ds_load_u16 v83, v89
	ds_load_u16 v84, v84 offset:28672
	v_lshl_or_b32 v86, v91, 3, v94
	s_waitcnt lgkmcnt(4)
	v_add_lshl_u32 v1, v1, v82, 2
	s_waitcnt lgkmcnt(1)
	v_add_nc_u16 v85, v83, 1
	v_and_b32_e32 v5, 0xffff, v83
	ds_store_b16 v89, v85
	ds_load_u16 v85, v92
	ds_load_u16 v86, v86 offset:28672
	s_waitcnt lgkmcnt(3)
	v_add_lshl_u32 v5, v5, v84, 2
	s_waitcnt lgkmcnt(1)
	v_add_nc_u16 v87, v85, 1
	v_and_b32_e32 v54, 0xffff, v85
	ds_store_b16 v92, v87
	ds_load_u16 v87, v96
	ds_load_u16 v88, v88 offset:28672
	v_lshl_or_b32 v92, v101, 3, v103
	v_lshl_or_b32 v101, v113, 3, v115
	;; [unrolled: 1-line block ×5, first 2 shown]
	s_waitcnt lgkmcnt(3)
	v_add_lshl_u32 v54, v54, v86, 2
	s_waitcnt lgkmcnt(1)
	v_add_nc_u16 v89, v87, 1
	v_and_b32_e32 v80, 0xffff, v87
	ds_store_b16 v96, v89
	ds_load_u16 v89, v99
	ds_load_u16 v90, v90 offset:28672
	s_waitcnt lgkmcnt(3)
	v_add_lshl_u32 v2, v80, v88, 2
	s_waitcnt lgkmcnt(1)
	v_add_nc_u16 v91, v89, 1
	ds_store_b16 v99, v91
	ds_load_u16 v91, v102
	ds_load_u16 v92, v92 offset:28672
	v_lshl_or_b32 v99, v110, 3, v112
	s_waitcnt lgkmcnt(1)
	v_add_nc_u16 v94, v91, 1
	ds_store_b16 v102, v94
	ds_load_u16 v94, v105
	ds_load_u16 v95, v95 offset:28672
	s_waitcnt lgkmcnt(1)
	v_add_nc_u16 v96, v94, 1
	ds_store_b16 v105, v96
	ds_load_u16 v96, v108
	ds_load_u16 v97, v97 offset:28672
	v_lshl_or_b32 v105, v119, 3, v121
	v_lshl_or_b32 v119, v141, 3, v142
	;; [unrolled: 1-line block ×3, first 2 shown]
	s_waitcnt lgkmcnt(1)
	v_add_nc_u16 v98, v96, 1
	v_and_b32_e32 v6, 0xffff, v96
	ds_store_b16 v108, v98
	ds_load_u16 v98, v111
	ds_load_u16 v99, v99 offset:28672
	s_waitcnt lgkmcnt(1)
	v_add_nc_u16 v100, v98, 1
	ds_store_b16 v111, v100
	ds_load_u16 v100, v114
	ds_load_u16 v101, v101 offset:28672
	v_lshl_or_b32 v111, v128, 3, v130
	s_waitcnt lgkmcnt(1)
	v_add_nc_u16 v102, v100, 1
	ds_store_b16 v114, v102
	ds_load_u16 v102, v117
	ds_load_u16 v103, v103 offset:28672
	s_waitcnt lgkmcnt(1)
	v_add_nc_u16 v104, v102, 1
	ds_store_b16 v117, v104
	ds_load_u16 v104, v120
	ds_load_u16 v105, v105 offset:28672
	v_lshl_or_b32 v117, v138, 3, v140
	s_waitcnt lgkmcnt(1)
	v_add_nc_u16 v106, v104, 1
	ds_store_b16 v120, v106
	ds_load_u16 v106, v123
	ds_load_u16 v107, v107 offset:28672
	s_waitcnt lgkmcnt(1)
	v_add_nc_u16 v108, v106, 1
	ds_store_b16 v123, v108
	ds_load_u16 v108, v126
	ds_load_u16 v109, v109 offset:28672
	;; [unrolled: 5-line block ×8, first 2 shown]
	ds_store_2addr_stride64_b32 v1, v3, v7 offset1:48
	ds_store_2addr_stride64_b32 v5, v4, v8 offset1:48
	;; [unrolled: 1-line block ×3, first 2 shown]
	v_lshl_or_b32 v121, v144, 3, v146
	ds_store_2addr_stride64_b32 v2, v10, v14 offset1:48
	v_and_b32_e32 v2, 0xffff, v89
	v_and_b32_e32 v3, 0xffff, v91
	;; [unrolled: 1-line block ×5, first 2 shown]
	v_add_lshl_u32 v2, v2, v90, 2
	v_add_lshl_u32 v3, v3, v92, 2
	;; [unrolled: 1-line block ×3, first 2 shown]
	v_and_b32_e32 v9, 0xffff, v116
	v_add_lshl_u32 v8, v8, v113, 2
	s_waitcnt lgkmcnt(5)
	v_add_nc_u16 v1, v120, 1
	ds_store_b16 v93, v1
	ds_load_u16 v1, v121 offset:28672
	ds_load_u16 v5, v78
	ds_store_2addr_stride64_b32 v2, v11, v15 offset1:48
	ds_store_2addr_stride64_b32 v3, v12, v16 offset1:48
	;; [unrolled: 1-line block ×3, first 2 shown]
	v_add_lshl_u32 v2, v6, v97, 2
	v_add_lshl_u32 v3, v7, v99, 2
	v_and_b32_e32 v4, 0xffff, v100
	v_and_b32_e32 v7, 0xffff, v104
	v_and_b32_e32 v6, 0xffff, v102
	ds_store_2addr_stride64_b32 v2, v18, v22 offset1:48
	ds_store_2addr_stride64_b32 v3, v19, v23 offset1:48
	v_add_lshl_u32 v2, v4, v101, 2
	v_add_lshl_u32 v4, v7, v105, 2
	;; [unrolled: 1-line block ×3, first 2 shown]
	v_and_b32_e32 v6, 0xffff, v106
	ds_store_2addr_stride64_b32 v2, v20, v24 offset1:48
	ds_store_2addr_stride64_b32 v3, v25, v29 offset1:48
	;; [unrolled: 1-line block ×3, first 2 shown]
	v_add_lshl_u32 v2, v6, v107, 2
	v_and_b32_e32 v6, 0xffff, v108
	s_waitcnt lgkmcnt(8)
	v_add_nc_u16 v7, v5, 1
	v_and_b32_e32 v5, 0xffff, v5
	s_delay_alu instid0(VALU_DEP_3)
	v_add_lshl_u32 v6, v6, v109, 2
	ds_store_b16 v78, v7
	ds_load_u16 v3, v122 offset:28672
	ds_load_u16 v4, v0
	v_and_b32_e32 v7, 0xffff, v110
	ds_store_2addr_stride64_b32 v2, v27, v31 offset1:48
	v_and_b32_e32 v2, 0xffff, v114
	v_add_lshl_u32 v1, v5, v1, 2
	v_add_lshl_u32 v7, v7, v111, 2
	ds_store_2addr_stride64_b32 v6, v28, v32 offset1:48
	ds_store_2addr_stride64_b32 v7, v33, v37 offset1:48
	;; [unrolled: 1-line block ×3, first 2 shown]
	v_add_lshl_u32 v2, v2, v115, 2
	v_add_lshl_u32 v6, v9, v117, 2
	v_and_b32_e32 v7, 0xffff, v120
	ds_store_2addr_stride64_b32 v2, v35, v39 offset1:48
	v_and_b32_e32 v2, 0xffff, v118
	ds_store_2addr_stride64_b32 v6, v36, v40 offset1:48
	v_add_lshl_u32 v7, v7, v55, 2
	s_waitcnt lgkmcnt(6)
	v_and_b32_e32 v6, 0xffff, v4
	v_add_nc_u16 v4, v4, 1
	v_add_lshl_u32 v2, v2, v119, 2
	s_delay_alu instid0(VALU_DEP_3)
	v_add_lshl_u32 v3, v6, v3, 2
	ds_store_2addr_stride64_b32 v2, v41, v45 offset1:48
	ds_store_2addr_stride64_b32 v7, v42, v46 offset1:48
	;; [unrolled: 1-line block ×3, first 2 shown]
	ds_store_b16 v0, v4
	ds_store_2addr_stride64_b32 v3, v44, v48 offset1:48
	s_waitcnt lgkmcnt(0)
	s_barrier
	buffer_gl0_inv
	ds_load_b128 v[0:3], v56
	v_dual_mov_b32 v6, s36 :: v_dual_mov_b32 v7, s37
	s_waitcnt lgkmcnt(0)
	v_ashrrev_i32_e32 v4, s31, v0
	v_ashrrev_i32_e32 v9, s31, v3
	s_delay_alu instid0(VALU_DEP_2) | instskip(SKIP_1) | instid1(VALU_DEP_3)
	v_and_b32_e32 v5, 3, v4
	v_bfe_u32 v78, v4, 2, 2
	v_and_b32_e32 v10, 3, v9
	v_bfe_u32 v88, v9, 2, 2
	s_delay_alu instid0(VALU_DEP_4) | instskip(NEXT) | instid1(VALU_DEP_4)
	v_lshlrev_b32_e32 v80, 1, v5
	v_lshlrev_b32_e32 v8, 3, v78
	v_dual_mov_b32 v4, s34 :: v_dual_mov_b32 v5, s35
	ds_store_2addr_b64 v58, v[4:5], v[6:7] offset1:1
	ds_store_2addr_b64 v58, v[4:5], v[6:7] offset0:2 offset1:3
	v_or3_b32 v81, v58, v8, v80
	v_ashrrev_i32_e32 v5, s31, v1
	v_lshlrev_b32_e32 v90, 1, v10
	v_lshlrev_b32_e32 v9, 3, v88
	ds_load_u16 v4, v81
	v_and_b32_e32 v6, 3, v5
	v_bfe_u32 v82, v5, 2, 2
	v_or3_b32 v89, v58, v9, v90
	s_delay_alu instid0(VALU_DEP_3) | instskip(NEXT) | instid1(VALU_DEP_3)
	v_lshlrev_b32_e32 v84, 1, v6
	v_lshlrev_b32_e32 v5, 3, v82
	s_delay_alu instid0(VALU_DEP_1) | instskip(SKIP_1) | instid1(VALU_DEP_1)
	v_or3_b32 v83, v58, v5, v84
	v_ashrrev_i32_e32 v5, s31, v2
	v_and_b32_e32 v6, 3, v5
	v_bfe_u32 v85, v5, 2, 2
	s_waitcnt lgkmcnt(0)
	v_add_nc_u16 v4, v4, 1
	s_delay_alu instid0(VALU_DEP_3) | instskip(NEXT) | instid1(VALU_DEP_3)
	v_lshlrev_b32_e32 v87, 1, v6
	v_lshlrev_b32_e32 v5, 3, v85
	ds_store_b16 v81, v4
	ds_load_u16 v4, v83
	v_or3_b32 v86, v58, v5, v87
	s_waitcnt lgkmcnt(0)
	v_add_nc_u16 v4, v4, 1
	ds_store_b16 v83, v4
	ds_load_u16 v8, v86
	ds_load_b128 v[4:7], v56 offset:16
	s_waitcnt lgkmcnt(1)
	v_add_nc_u16 v8, v8, 1
	s_waitcnt lgkmcnt(0)
	v_ashrrev_i32_e32 v9, s31, v4
	v_ashrrev_i32_e32 v13, s31, v7
	ds_store_b16 v86, v8
	ds_load_u16 v8, v89
	v_and_b32_e32 v10, 3, v9
	v_bfe_u32 v91, v9, 2, 2
	v_and_b32_e32 v14, 3, v13
	v_bfe_u32 v101, v13, 2, 2
	s_delay_alu instid0(VALU_DEP_4) | instskip(NEXT) | instid1(VALU_DEP_4)
	v_lshlrev_b32_e32 v93, 1, v10
	v_lshlrev_b32_e32 v9, 3, v91
	s_delay_alu instid0(VALU_DEP_4) | instskip(NEXT) | instid1(VALU_DEP_4)
	v_lshlrev_b32_e32 v103, 1, v14
	v_lshlrev_b32_e32 v13, 3, v101
	s_delay_alu instid0(VALU_DEP_3) | instskip(SKIP_1) | instid1(VALU_DEP_3)
	v_or3_b32 v92, v58, v9, v93
	v_ashrrev_i32_e32 v9, s31, v5
	v_or3_b32 v102, v58, v13, v103
	s_delay_alu instid0(VALU_DEP_2) | instskip(SKIP_3) | instid1(VALU_DEP_3)
	v_and_b32_e32 v10, 3, v9
	v_bfe_u32 v94, v9, 2, 2
	s_waitcnt lgkmcnt(0)
	v_add_nc_u16 v8, v8, 1
	v_lshlrev_b32_e32 v96, 1, v10
	s_delay_alu instid0(VALU_DEP_3) | instskip(SKIP_4) | instid1(VALU_DEP_1)
	v_lshlrev_b32_e32 v9, 3, v94
	ds_store_b16 v89, v8
	ds_load_u16 v8, v92
	v_or3_b32 v95, v58, v9, v96
	v_ashrrev_i32_e32 v9, s31, v6
	v_and_b32_e32 v10, 3, v9
	v_bfe_u32 v97, v9, 2, 2
	s_delay_alu instid0(VALU_DEP_2) | instskip(NEXT) | instid1(VALU_DEP_2)
	v_lshlrev_b32_e32 v100, 1, v10
	v_lshlrev_b32_e32 v9, 3, v97
	s_waitcnt lgkmcnt(0)
	v_add_nc_u16 v8, v8, 1
	s_delay_alu instid0(VALU_DEP_2)
	v_or3_b32 v99, v58, v9, v100
	ds_store_b16 v92, v8
	ds_load_u16 v8, v95
	s_waitcnt lgkmcnt(0)
	v_add_nc_u16 v8, v8, 1
	ds_store_b16 v95, v8
	ds_load_u16 v12, v99
	ds_load_b128 v[8:11], v56 offset:32
	s_waitcnt lgkmcnt(1)
	v_add_nc_u16 v12, v12, 1
	s_waitcnt lgkmcnt(0)
	v_ashrrev_i32_e32 v13, s31, v8
	v_ashrrev_i32_e32 v17, s31, v11
	ds_store_b16 v99, v12
	ds_load_u16 v12, v102
	v_and_b32_e32 v14, 3, v13
	v_bfe_u32 v104, v13, 2, 2
	v_and_b32_e32 v18, 3, v17
	v_bfe_u32 v113, v17, 2, 2
	s_delay_alu instid0(VALU_DEP_4) | instskip(NEXT) | instid1(VALU_DEP_4)
	v_lshlrev_b32_e32 v106, 1, v14
	v_lshlrev_b32_e32 v13, 3, v104
	s_delay_alu instid0(VALU_DEP_4) | instskip(NEXT) | instid1(VALU_DEP_4)
	v_lshlrev_b32_e32 v115, 1, v18
	v_lshlrev_b32_e32 v17, 3, v113
	s_delay_alu instid0(VALU_DEP_3) | instskip(SKIP_1) | instid1(VALU_DEP_3)
	v_or3_b32 v105, v58, v13, v106
	v_ashrrev_i32_e32 v13, s31, v9
	v_or3_b32 v114, v58, v17, v115
	s_delay_alu instid0(VALU_DEP_2) | instskip(SKIP_3) | instid1(VALU_DEP_3)
	v_and_b32_e32 v14, 3, v13
	v_bfe_u32 v107, v13, 2, 2
	s_waitcnt lgkmcnt(0)
	v_add_nc_u16 v12, v12, 1
	v_lshlrev_b32_e32 v109, 1, v14
	s_delay_alu instid0(VALU_DEP_3) | instskip(SKIP_4) | instid1(VALU_DEP_1)
	v_lshlrev_b32_e32 v13, 3, v107
	ds_store_b16 v102, v12
	ds_load_u16 v12, v105
	v_or3_b32 v108, v58, v13, v109
	v_ashrrev_i32_e32 v13, s31, v10
	v_and_b32_e32 v14, 3, v13
	v_bfe_u32 v110, v13, 2, 2
	s_delay_alu instid0(VALU_DEP_2) | instskip(NEXT) | instid1(VALU_DEP_2)
	v_lshlrev_b32_e32 v112, 1, v14
	v_lshlrev_b32_e32 v13, 3, v110
	s_waitcnt lgkmcnt(0)
	v_add_nc_u16 v12, v12, 1
	s_delay_alu instid0(VALU_DEP_2)
	v_or3_b32 v111, v58, v13, v112
	ds_store_b16 v105, v12
	ds_load_u16 v12, v108
	;; [unrolled: 49-line block ×4, first 2 shown]
	s_waitcnt lgkmcnt(0)
	v_add_nc_u16 v20, v20, 1
	ds_store_b16 v132, v20
	ds_load_u16 v24, v136
	ds_load_b128 v[20:23], v56 offset:80
	s_waitcnt lgkmcnt(1)
	v_add_nc_u16 v24, v24, 1
	s_waitcnt lgkmcnt(0)
	v_ashrrev_i32_e32 v25, s31, v20
	ds_store_b16 v136, v24
	ds_load_u16 v24, v139
	v_and_b32_e32 v26, 3, v25
	v_bfe_u32 v141, v25, 2, 2
	s_delay_alu instid0(VALU_DEP_2) | instskip(NEXT) | instid1(VALU_DEP_2)
	v_lshlrev_b32_e32 v142, 1, v26
	v_lshlrev_b32_e32 v25, 3, v141
	s_delay_alu instid0(VALU_DEP_1) | instskip(SKIP_1) | instid1(VALU_DEP_1)
	v_or3_b32 v135, v58, v25, v142
	v_ashrrev_i32_e32 v25, s31, v21
	v_and_b32_e32 v26, 3, v25
	v_bfe_u32 v143, v25, 2, 2
	s_waitcnt lgkmcnt(0)
	v_add_nc_u16 v24, v24, 1
	s_delay_alu instid0(VALU_DEP_3) | instskip(NEXT) | instid1(VALU_DEP_3)
	v_lshlrev_b32_e32 v145, 1, v26
	v_lshlrev_b32_e32 v25, 3, v143
	ds_store_b16 v139, v24
	ds_load_u16 v24, v135
	v_or3_b32 v98, v58, v25, v145
	v_ashrrev_i32_e32 v25, s31, v22
	s_delay_alu instid0(VALU_DEP_1) | instskip(SKIP_1) | instid1(VALU_DEP_2)
	v_and_b32_e32 v26, 3, v25
	v_bfe_u32 v144, v25, 2, 2
	v_lshlrev_b32_e32 v146, 1, v26
	s_delay_alu instid0(VALU_DEP_2) | instskip(SKIP_2) | instid1(VALU_DEP_2)
	v_lshlrev_b32_e32 v25, 3, v144
	s_waitcnt lgkmcnt(0)
	v_add_nc_u16 v24, v24, 1
	v_or3_b32 v79, v58, v25, v146
	v_ashrrev_i32_e32 v25, s31, v23
	ds_store_b16 v135, v24
	ds_load_u16 v24, v98
	v_and_b32_e32 v26, 3, v25
	v_bfe_u32 v147, v25, 2, 2
	s_delay_alu instid0(VALU_DEP_2) | instskip(NEXT) | instid1(VALU_DEP_2)
	v_lshlrev_b32_e32 v148, 1, v26
	v_lshlrev_b32_e32 v25, 3, v147
	s_delay_alu instid0(VALU_DEP_1)
	v_or3_b32 v48, v58, v25, v148
	s_waitcnt lgkmcnt(0)
	v_add_nc_u16 v24, v24, 1
	ds_store_b16 v98, v24
	ds_load_u16 v24, v79
	s_waitcnt lgkmcnt(0)
	v_add_nc_u16 v24, v24, 1
	ds_store_b16 v79, v24
	ds_load_u16 v24, v48
	ds_load_b128 v[44:47], v57
	ds_load_b128 v[40:43], v57 offset:16
	s_waitcnt lgkmcnt(2)
	v_add_nc_u16 v54, v24, 1
	ds_load_b128 v[36:39], v57 offset:32
	ds_load_b128 v[32:35], v57 offset:48
	;; [unrolled: 1-line block ×4, first 2 shown]
	ds_store_b16 v48, v54
	s_waitcnt lgkmcnt(0)
	s_barrier
	buffer_gl0_inv
	ds_load_b64 v[54:55], v58
	s_waitcnt lgkmcnt(0)
	ds_store_b64 v59, v[54:55]
	s_waitcnt lgkmcnt(0)
	s_barrier
	buffer_gl0_inv
	s_and_saveexec_b32 s33, s23
	s_cbranch_execz .LBB1_191
; %bb.190:                              ;   in Loop: Header=BB1_53 Depth=1
	ds_load_b128 v[149:152], v75
	s_waitcnt lgkmcnt(0)
	v_add_co_u32 v54, s30, v151, v149
	s_delay_alu instid0(VALU_DEP_1)
	v_add_co_ci_u32_e64 v55, s30, v152, v150, s30
	ds_store_b64 v75, v[54:55] offset:8
.LBB1_191:                              ;   in Loop: Header=BB1_53 Depth=1
	s_or_b32 exec_lo, exec_lo, s33
	s_waitcnt lgkmcnt(0)
	s_barrier
	buffer_gl0_inv
	s_and_saveexec_b32 s33, s24
	s_cbranch_execz .LBB1_193
; %bb.192:                              ;   in Loop: Header=BB1_53 Depth=1
	ds_load_b64 v[54:55], v61 offset:28696
	ds_load_b64 v[149:150], v60 offset:28696
	s_waitcnt lgkmcnt(0)
	v_add_co_u32 v54, s30, v149, v54
	s_delay_alu instid0(VALU_DEP_1)
	v_add_co_ci_u32_e64 v55, s30, v150, v55, s30
	ds_store_b64 v60, v[54:55] offset:28696
.LBB1_193:                              ;   in Loop: Header=BB1_53 Depth=1
	s_or_b32 exec_lo, exec_lo, s33
	s_waitcnt lgkmcnt(0)
	s_barrier
	buffer_gl0_inv
	s_and_saveexec_b32 s33, s25
	s_cbranch_execz .LBB1_195
; %bb.194:                              ;   in Loop: Header=BB1_53 Depth=1
	ds_load_b64 v[54:55], v63 offset:28696
	ds_load_b64 v[149:150], v62 offset:28696
	s_waitcnt lgkmcnt(0)
	v_add_co_u32 v54, s30, v149, v54
	s_delay_alu instid0(VALU_DEP_1)
	v_add_co_ci_u32_e64 v55, s30, v150, v55, s30
	ds_store_b64 v62, v[54:55] offset:28696
.LBB1_195:                              ;   in Loop: Header=BB1_53 Depth=1
	;; [unrolled: 15-line block ×5, first 2 shown]
	s_or_b32 exec_lo, exec_lo, s33
	s_waitcnt lgkmcnt(0)
	s_barrier
	buffer_gl0_inv
	s_and_saveexec_b32 s33, s29
	s_cbranch_execz .LBB1_203
; %bb.202:                              ;   in Loop: Header=BB1_53 Depth=1
	ds_load_2addr_stride64_b64 v[149:152], v77 offset0:57 offset1:58
	s_waitcnt lgkmcnt(0)
	v_add_co_u32 v54, s30, v151, v149
	s_delay_alu instid0(VALU_DEP_1)
	v_add_co_ci_u32_e64 v55, s30, v152, v150, s30
	ds_store_b64 v53, v[54:55] offset:29720
.LBB1_203:                              ;   in Loop: Header=BB1_53 Depth=1
	s_or_b32 exec_lo, exec_lo, s33
	s_waitcnt lgkmcnt(0)
	s_barrier
	buffer_gl0_inv
	s_barrier
	buffer_gl0_inv
	s_and_saveexec_b32 s33, s29
	s_cbranch_execz .LBB1_205
; %bb.204:                              ;   in Loop: Header=BB1_53 Depth=1
	ds_load_b64 v[149:150], v53 offset:29720
	v_mov_b32_e32 v54, v53
	s_waitcnt lgkmcnt(0)
	ds_store_b64 v53, v[149:150] offset:29728
	s_waitcnt lgkmcnt(0)
	buffer_gl0_inv
	ds_store_b64 v53, v[53:54] offset:29720
	s_waitcnt lgkmcnt(0)
	buffer_gl0_inv
	ds_load_2addr_stride64_b64 v[149:152], v77 offset0:57 offset1:58
	s_waitcnt lgkmcnt(0)
	v_add_co_u32 v54, s30, v151, v149
	s_delay_alu instid0(VALU_DEP_1)
	v_add_co_ci_u32_e64 v55, s30, v152, v150, s30
	ds_store_2addr_stride64_b64 v77, v[151:152], v[54:55] offset0:57 offset1:58
.LBB1_205:                              ;   in Loop: Header=BB1_53 Depth=1
	s_or_b32 exec_lo, exec_lo, s33
	s_waitcnt lgkmcnt(0)
	s_barrier
	buffer_gl0_inv
	s_and_saveexec_b32 s33, s28
	s_cbranch_execz .LBB1_207
; %bb.206:                              ;   in Loop: Header=BB1_53 Depth=1
	ds_load_b64 v[54:55], v69 offset:28696
	ds_load_b64 v[149:150], v68 offset:28696
	s_waitcnt lgkmcnt(0)
	v_add_co_u32 v54, s30, v149, v54
	s_delay_alu instid0(VALU_DEP_1)
	v_add_co_ci_u32_e64 v55, s30, v150, v55, s30
	ds_store_b64 v69, v[149:150] offset:28696
	ds_store_b64 v68, v[54:55] offset:28696
.LBB1_207:                              ;   in Loop: Header=BB1_53 Depth=1
	s_or_b32 exec_lo, exec_lo, s33
	s_waitcnt lgkmcnt(0)
	s_barrier
	buffer_gl0_inv
	s_and_saveexec_b32 s33, s27
	s_cbranch_execz .LBB1_209
; %bb.208:                              ;   in Loop: Header=BB1_53 Depth=1
	ds_load_b64 v[54:55], v67 offset:28696
	ds_load_b64 v[149:150], v66 offset:28696
	s_waitcnt lgkmcnt(0)
	v_add_co_u32 v54, s30, v149, v54
	s_delay_alu instid0(VALU_DEP_1)
	v_add_co_ci_u32_e64 v55, s30, v150, v55, s30
	ds_store_b64 v67, v[149:150] offset:28696
	ds_store_b64 v66, v[54:55] offset:28696
.LBB1_209:                              ;   in Loop: Header=BB1_53 Depth=1
	;; [unrolled: 16-line block ×5, first 2 shown]
	s_or_b32 exec_lo, exec_lo, s33
	s_waitcnt lgkmcnt(0)
	s_barrier
	buffer_gl0_inv
	s_and_saveexec_b32 s33, s23
	s_cbranch_execz .LBB1_217
; %bb.216:                              ;   in Loop: Header=BB1_53 Depth=1
	ds_load_b128 v[149:152], v75
	s_waitcnt lgkmcnt(0)
	v_add_co_u32 v153, s30, v151, v149
	s_delay_alu instid0(VALU_DEP_1)
	v_add_co_ci_u32_e64 v154, s30, v152, v150, s30
	ds_store_b128 v75, v[151:154]
.LBB1_217:                              ;   in Loop: Header=BB1_53 Depth=1
	s_or_b32 exec_lo, exec_lo, s33
	s_waitcnt lgkmcnt(0)
	s_barrier
	buffer_gl0_inv
	s_barrier
	buffer_gl0_inv
	ds_load_b64 v[54:55], v53 offset:29728
	s_waitcnt lgkmcnt(0)
	s_barrier
	buffer_gl0_inv
	ds_load_b64 v[149:150], v59
	s_waitcnt lgkmcnt(0)
	ds_store_b64 v58, v[149:150]
	s_and_saveexec_b32 s30, s29
	s_cbranch_execz .LBB1_219
; %bb.218:                              ;   in Loop: Header=BB1_53 Depth=1
	ds_store_b64 v53, v[54:55] offset:28672
.LBB1_219:                              ;   in Loop: Header=BB1_53 Depth=1
	s_or_b32 exec_lo, exec_lo, s30
	ds_load_b64 v[54:55], v58 offset:8
	s_waitcnt lgkmcnt(0)
	ds_store_b64 v59, v[54:55]
	s_waitcnt lgkmcnt(0)
	s_barrier
	buffer_gl0_inv
	s_and_saveexec_b32 s33, s23
	s_cbranch_execz .LBB1_221
; %bb.220:                              ;   in Loop: Header=BB1_53 Depth=1
	ds_load_b128 v[149:152], v75
	s_waitcnt lgkmcnt(0)
	v_add_co_u32 v54, s30, v151, v149
	s_delay_alu instid0(VALU_DEP_1)
	v_add_co_ci_u32_e64 v55, s30, v152, v150, s30
	ds_store_b64 v75, v[54:55] offset:8
.LBB1_221:                              ;   in Loop: Header=BB1_53 Depth=1
	s_or_b32 exec_lo, exec_lo, s33
	s_waitcnt lgkmcnt(0)
	s_barrier
	buffer_gl0_inv
	s_and_saveexec_b32 s33, s24
	s_cbranch_execz .LBB1_223
; %bb.222:                              ;   in Loop: Header=BB1_53 Depth=1
	ds_load_b64 v[54:55], v61 offset:28696
	ds_load_b64 v[149:150], v60 offset:28696
	s_waitcnt lgkmcnt(0)
	v_add_co_u32 v54, s30, v149, v54
	s_delay_alu instid0(VALU_DEP_1)
	v_add_co_ci_u32_e64 v55, s30, v150, v55, s30
	ds_store_b64 v60, v[54:55] offset:28696
.LBB1_223:                              ;   in Loop: Header=BB1_53 Depth=1
	s_or_b32 exec_lo, exec_lo, s33
	s_waitcnt lgkmcnt(0)
	s_barrier
	buffer_gl0_inv
	s_and_saveexec_b32 s33, s25
	s_cbranch_execz .LBB1_225
; %bb.224:                              ;   in Loop: Header=BB1_53 Depth=1
	ds_load_b64 v[54:55], v63 offset:28696
	ds_load_b64 v[149:150], v62 offset:28696
	s_waitcnt lgkmcnt(0)
	v_add_co_u32 v54, s30, v149, v54
	s_delay_alu instid0(VALU_DEP_1)
	v_add_co_ci_u32_e64 v55, s30, v150, v55, s30
	ds_store_b64 v62, v[54:55] offset:28696
.LBB1_225:                              ;   in Loop: Header=BB1_53 Depth=1
	;; [unrolled: 15-line block ×5, first 2 shown]
	s_or_b32 exec_lo, exec_lo, s33
	s_waitcnt lgkmcnt(0)
	s_barrier
	buffer_gl0_inv
	s_and_saveexec_b32 s33, s29
	s_cbranch_execz .LBB1_233
; %bb.232:                              ;   in Loop: Header=BB1_53 Depth=1
	ds_load_2addr_stride64_b64 v[149:152], v77 offset0:57 offset1:58
	s_waitcnt lgkmcnt(0)
	v_add_co_u32 v54, s30, v151, v149
	s_delay_alu instid0(VALU_DEP_1)
	v_add_co_ci_u32_e64 v55, s30, v152, v150, s30
	ds_store_b64 v53, v[54:55] offset:29720
.LBB1_233:                              ;   in Loop: Header=BB1_53 Depth=1
	s_or_b32 exec_lo, exec_lo, s33
	s_waitcnt lgkmcnt(0)
	s_barrier
	buffer_gl0_inv
	s_barrier
	buffer_gl0_inv
	s_and_saveexec_b32 s33, s29
	s_cbranch_execz .LBB1_235
; %bb.234:                              ;   in Loop: Header=BB1_53 Depth=1
	ds_load_b64 v[149:150], v53 offset:29720
	v_mov_b32_e32 v54, v53
	s_waitcnt lgkmcnt(0)
	ds_store_b64 v53, v[149:150] offset:29728
	s_waitcnt lgkmcnt(0)
	buffer_gl0_inv
	ds_store_b64 v53, v[53:54] offset:29720
	s_waitcnt lgkmcnt(0)
	buffer_gl0_inv
	ds_load_2addr_stride64_b64 v[149:152], v77 offset0:57 offset1:58
	s_waitcnt lgkmcnt(0)
	v_add_co_u32 v54, s30, v151, v149
	s_delay_alu instid0(VALU_DEP_1)
	v_add_co_ci_u32_e64 v55, s30, v152, v150, s30
	ds_store_2addr_stride64_b64 v77, v[151:152], v[54:55] offset0:57 offset1:58
.LBB1_235:                              ;   in Loop: Header=BB1_53 Depth=1
	s_or_b32 exec_lo, exec_lo, s33
	s_waitcnt lgkmcnt(0)
	s_barrier
	buffer_gl0_inv
	s_and_saveexec_b32 s33, s28
	s_cbranch_execz .LBB1_237
; %bb.236:                              ;   in Loop: Header=BB1_53 Depth=1
	ds_load_b64 v[54:55], v69 offset:28696
	ds_load_b64 v[149:150], v68 offset:28696
	s_waitcnt lgkmcnt(0)
	v_add_co_u32 v54, s30, v149, v54
	s_delay_alu instid0(VALU_DEP_1)
	v_add_co_ci_u32_e64 v55, s30, v150, v55, s30
	ds_store_b64 v69, v[149:150] offset:28696
	ds_store_b64 v68, v[54:55] offset:28696
.LBB1_237:                              ;   in Loop: Header=BB1_53 Depth=1
	s_or_b32 exec_lo, exec_lo, s33
	s_waitcnt lgkmcnt(0)
	s_barrier
	buffer_gl0_inv
	s_and_saveexec_b32 s33, s27
	s_cbranch_execz .LBB1_239
; %bb.238:                              ;   in Loop: Header=BB1_53 Depth=1
	ds_load_b64 v[54:55], v67 offset:28696
	ds_load_b64 v[149:150], v66 offset:28696
	s_waitcnt lgkmcnt(0)
	v_add_co_u32 v54, s30, v149, v54
	s_delay_alu instid0(VALU_DEP_1)
	v_add_co_ci_u32_e64 v55, s30, v150, v55, s30
	ds_store_b64 v67, v[149:150] offset:28696
	ds_store_b64 v66, v[54:55] offset:28696
.LBB1_239:                              ;   in Loop: Header=BB1_53 Depth=1
	;; [unrolled: 16-line block ×5, first 2 shown]
	s_or_b32 exec_lo, exec_lo, s33
	s_waitcnt lgkmcnt(0)
	s_barrier
	buffer_gl0_inv
	s_and_saveexec_b32 s33, s23
	s_cbranch_execz .LBB1_247
; %bb.246:                              ;   in Loop: Header=BB1_53 Depth=1
	ds_load_b128 v[149:152], v75
	s_waitcnt lgkmcnt(0)
	v_add_co_u32 v153, s30, v151, v149
	s_delay_alu instid0(VALU_DEP_1)
	v_add_co_ci_u32_e64 v154, s30, v152, v150, s30
	ds_store_b128 v75, v[151:154]
.LBB1_247:                              ;   in Loop: Header=BB1_53 Depth=1
	s_or_b32 exec_lo, exec_lo, s33
	s_waitcnt lgkmcnt(0)
	s_barrier
	buffer_gl0_inv
	s_barrier
	buffer_gl0_inv
	ds_load_b64 v[54:55], v53 offset:29728
	s_waitcnt lgkmcnt(0)
	s_barrier
	buffer_gl0_inv
	ds_load_b64 v[149:150], v59
	s_waitcnt lgkmcnt(0)
	ds_store_b64 v58, v[149:150] offset:8
	s_and_saveexec_b32 s30, s29
	s_cbranch_execz .LBB1_249
; %bb.248:                              ;   in Loop: Header=BB1_53 Depth=1
	ds_store_b64 v53, v[54:55] offset:28680
.LBB1_249:                              ;   in Loop: Header=BB1_53 Depth=1
	s_or_b32 exec_lo, exec_lo, s30
	ds_load_b64 v[54:55], v58 offset:16
	s_waitcnt lgkmcnt(0)
	ds_store_b64 v59, v[54:55]
	s_waitcnt lgkmcnt(0)
	s_barrier
	buffer_gl0_inv
	s_and_saveexec_b32 s33, s23
	s_cbranch_execz .LBB1_251
; %bb.250:                              ;   in Loop: Header=BB1_53 Depth=1
	ds_load_b128 v[149:152], v75
	s_waitcnt lgkmcnt(0)
	v_add_co_u32 v54, s30, v151, v149
	s_delay_alu instid0(VALU_DEP_1)
	v_add_co_ci_u32_e64 v55, s30, v152, v150, s30
	ds_store_b64 v75, v[54:55] offset:8
.LBB1_251:                              ;   in Loop: Header=BB1_53 Depth=1
	s_or_b32 exec_lo, exec_lo, s33
	s_waitcnt lgkmcnt(0)
	s_barrier
	buffer_gl0_inv
	s_and_saveexec_b32 s33, s24
	s_cbranch_execz .LBB1_253
; %bb.252:                              ;   in Loop: Header=BB1_53 Depth=1
	ds_load_b64 v[54:55], v61 offset:28696
	ds_load_b64 v[149:150], v60 offset:28696
	s_waitcnt lgkmcnt(0)
	v_add_co_u32 v54, s30, v149, v54
	s_delay_alu instid0(VALU_DEP_1)
	v_add_co_ci_u32_e64 v55, s30, v150, v55, s30
	ds_store_b64 v60, v[54:55] offset:28696
.LBB1_253:                              ;   in Loop: Header=BB1_53 Depth=1
	s_or_b32 exec_lo, exec_lo, s33
	s_waitcnt lgkmcnt(0)
	s_barrier
	buffer_gl0_inv
	s_and_saveexec_b32 s33, s25
	s_cbranch_execz .LBB1_255
; %bb.254:                              ;   in Loop: Header=BB1_53 Depth=1
	ds_load_b64 v[54:55], v63 offset:28696
	ds_load_b64 v[149:150], v62 offset:28696
	s_waitcnt lgkmcnt(0)
	v_add_co_u32 v54, s30, v149, v54
	s_delay_alu instid0(VALU_DEP_1)
	v_add_co_ci_u32_e64 v55, s30, v150, v55, s30
	ds_store_b64 v62, v[54:55] offset:28696
.LBB1_255:                              ;   in Loop: Header=BB1_53 Depth=1
	;; [unrolled: 15-line block ×5, first 2 shown]
	s_or_b32 exec_lo, exec_lo, s33
	s_waitcnt lgkmcnt(0)
	s_barrier
	buffer_gl0_inv
	s_and_saveexec_b32 s33, s29
	s_cbranch_execz .LBB1_263
; %bb.262:                              ;   in Loop: Header=BB1_53 Depth=1
	ds_load_2addr_stride64_b64 v[149:152], v77 offset0:57 offset1:58
	s_waitcnt lgkmcnt(0)
	v_add_co_u32 v54, s30, v151, v149
	s_delay_alu instid0(VALU_DEP_1)
	v_add_co_ci_u32_e64 v55, s30, v152, v150, s30
	ds_store_b64 v53, v[54:55] offset:29720
.LBB1_263:                              ;   in Loop: Header=BB1_53 Depth=1
	s_or_b32 exec_lo, exec_lo, s33
	s_waitcnt lgkmcnt(0)
	s_barrier
	buffer_gl0_inv
	s_barrier
	buffer_gl0_inv
	s_and_saveexec_b32 s33, s29
	s_cbranch_execz .LBB1_265
; %bb.264:                              ;   in Loop: Header=BB1_53 Depth=1
	ds_load_b64 v[149:150], v53 offset:29720
	v_mov_b32_e32 v54, v53
	s_waitcnt lgkmcnt(0)
	ds_store_b64 v53, v[149:150] offset:29728
	s_waitcnt lgkmcnt(0)
	buffer_gl0_inv
	ds_store_b64 v53, v[53:54] offset:29720
	s_waitcnt lgkmcnt(0)
	buffer_gl0_inv
	ds_load_2addr_stride64_b64 v[149:152], v77 offset0:57 offset1:58
	s_waitcnt lgkmcnt(0)
	v_add_co_u32 v54, s30, v151, v149
	s_delay_alu instid0(VALU_DEP_1)
	v_add_co_ci_u32_e64 v55, s30, v152, v150, s30
	ds_store_2addr_stride64_b64 v77, v[151:152], v[54:55] offset0:57 offset1:58
.LBB1_265:                              ;   in Loop: Header=BB1_53 Depth=1
	s_or_b32 exec_lo, exec_lo, s33
	s_waitcnt lgkmcnt(0)
	s_barrier
	buffer_gl0_inv
	s_and_saveexec_b32 s33, s28
	s_cbranch_execz .LBB1_267
; %bb.266:                              ;   in Loop: Header=BB1_53 Depth=1
	ds_load_b64 v[54:55], v69 offset:28696
	ds_load_b64 v[149:150], v68 offset:28696
	s_waitcnt lgkmcnt(0)
	v_add_co_u32 v54, s30, v149, v54
	s_delay_alu instid0(VALU_DEP_1)
	v_add_co_ci_u32_e64 v55, s30, v150, v55, s30
	ds_store_b64 v69, v[149:150] offset:28696
	ds_store_b64 v68, v[54:55] offset:28696
.LBB1_267:                              ;   in Loop: Header=BB1_53 Depth=1
	s_or_b32 exec_lo, exec_lo, s33
	s_waitcnt lgkmcnt(0)
	s_barrier
	buffer_gl0_inv
	s_and_saveexec_b32 s33, s27
	s_cbranch_execz .LBB1_269
; %bb.268:                              ;   in Loop: Header=BB1_53 Depth=1
	ds_load_b64 v[54:55], v67 offset:28696
	ds_load_b64 v[149:150], v66 offset:28696
	s_waitcnt lgkmcnt(0)
	v_add_co_u32 v54, s30, v149, v54
	s_delay_alu instid0(VALU_DEP_1)
	v_add_co_ci_u32_e64 v55, s30, v150, v55, s30
	ds_store_b64 v67, v[149:150] offset:28696
	ds_store_b64 v66, v[54:55] offset:28696
.LBB1_269:                              ;   in Loop: Header=BB1_53 Depth=1
	s_or_b32 exec_lo, exec_lo, s33
	s_waitcnt lgkmcnt(0)
	s_barrier
	buffer_gl0_inv
	s_and_saveexec_b32 s33, s26
	s_cbranch_execz .LBB1_271
; %bb.270:                              ;   in Loop: Header=BB1_53 Depth=1
	ds_load_b64 v[54:55], v65 offset:28696
	ds_load_b64 v[149:150], v64 offset:28696
	s_waitcnt lgkmcnt(0)
	v_add_co_u32 v54, s30, v149, v54
	s_delay_alu instid0(VALU_DEP_1)
	v_add_co_ci_u32_e64 v55, s30, v150, v55, s30
	ds_store_b64 v65, v[149:150] offset:28696
	ds_store_b64 v64, v[54:55] offset:28696
.LBB1_271:                              ;   in Loop: Header=BB1_53 Depth=1
	s_or_b32 exec_lo, exec_lo, s33
	s_waitcnt lgkmcnt(0)
	s_barrier
	buffer_gl0_inv
	s_and_saveexec_b32 s33, s25
	s_cbranch_execz .LBB1_273
; %bb.272:                              ;   in Loop: Header=BB1_53 Depth=1
	ds_load_b64 v[54:55], v63 offset:28696
	ds_load_b64 v[149:150], v62 offset:28696
	s_waitcnt lgkmcnt(0)
	v_add_co_u32 v54, s30, v149, v54
	s_delay_alu instid0(VALU_DEP_1)
	v_add_co_ci_u32_e64 v55, s30, v150, v55, s30
	ds_store_b64 v63, v[149:150] offset:28696
	ds_store_b64 v62, v[54:55] offset:28696
.LBB1_273:                              ;   in Loop: Header=BB1_53 Depth=1
	s_or_b32 exec_lo, exec_lo, s33
	s_waitcnt lgkmcnt(0)
	s_barrier
	buffer_gl0_inv
	s_and_saveexec_b32 s33, s24
	s_cbranch_execz .LBB1_275
; %bb.274:                              ;   in Loop: Header=BB1_53 Depth=1
	ds_load_b64 v[54:55], v61 offset:28696
	ds_load_b64 v[149:150], v60 offset:28696
	s_waitcnt lgkmcnt(0)
	v_add_co_u32 v54, s30, v149, v54
	s_delay_alu instid0(VALU_DEP_1)
	v_add_co_ci_u32_e64 v55, s30, v150, v55, s30
	ds_store_b64 v61, v[149:150] offset:28696
	ds_store_b64 v60, v[54:55] offset:28696
.LBB1_275:                              ;   in Loop: Header=BB1_53 Depth=1
	s_or_b32 exec_lo, exec_lo, s33
	s_waitcnt lgkmcnt(0)
	s_barrier
	buffer_gl0_inv
	s_and_saveexec_b32 s33, s23
	s_cbranch_execz .LBB1_277
; %bb.276:                              ;   in Loop: Header=BB1_53 Depth=1
	ds_load_b128 v[149:152], v75
	s_waitcnt lgkmcnt(0)
	v_add_co_u32 v153, s30, v151, v149
	s_delay_alu instid0(VALU_DEP_1)
	v_add_co_ci_u32_e64 v154, s30, v152, v150, s30
	ds_store_b128 v75, v[151:154]
.LBB1_277:                              ;   in Loop: Header=BB1_53 Depth=1
	s_or_b32 exec_lo, exec_lo, s33
	s_waitcnt lgkmcnt(0)
	s_barrier
	buffer_gl0_inv
	s_barrier
	buffer_gl0_inv
	ds_load_b64 v[54:55], v53 offset:29728
	s_waitcnt lgkmcnt(0)
	s_barrier
	buffer_gl0_inv
	ds_load_b64 v[149:150], v59
	s_waitcnt lgkmcnt(0)
	ds_store_b64 v58, v[149:150] offset:16
	s_and_saveexec_b32 s30, s29
	s_cbranch_execz .LBB1_279
; %bb.278:                              ;   in Loop: Header=BB1_53 Depth=1
	ds_store_b64 v53, v[54:55] offset:28688
.LBB1_279:                              ;   in Loop: Header=BB1_53 Depth=1
	s_or_b32 exec_lo, exec_lo, s30
	ds_load_b64 v[54:55], v58 offset:24
	s_waitcnt lgkmcnt(0)
	ds_store_b64 v59, v[54:55]
	s_waitcnt lgkmcnt(0)
	s_barrier
	buffer_gl0_inv
	s_and_saveexec_b32 s33, s23
	s_cbranch_execz .LBB1_281
; %bb.280:                              ;   in Loop: Header=BB1_53 Depth=1
	ds_load_b128 v[149:152], v75
	s_waitcnt lgkmcnt(0)
	v_add_co_u32 v54, s30, v151, v149
	s_delay_alu instid0(VALU_DEP_1)
	v_add_co_ci_u32_e64 v55, s30, v152, v150, s30
	ds_store_b64 v75, v[54:55] offset:8
.LBB1_281:                              ;   in Loop: Header=BB1_53 Depth=1
	s_or_b32 exec_lo, exec_lo, s33
	s_waitcnt lgkmcnt(0)
	s_barrier
	buffer_gl0_inv
	s_and_saveexec_b32 s33, s24
	s_cbranch_execz .LBB1_283
; %bb.282:                              ;   in Loop: Header=BB1_53 Depth=1
	ds_load_b64 v[54:55], v61 offset:28696
	ds_load_b64 v[149:150], v60 offset:28696
	s_waitcnt lgkmcnt(0)
	v_add_co_u32 v54, s30, v149, v54
	s_delay_alu instid0(VALU_DEP_1)
	v_add_co_ci_u32_e64 v55, s30, v150, v55, s30
	ds_store_b64 v60, v[54:55] offset:28696
.LBB1_283:                              ;   in Loop: Header=BB1_53 Depth=1
	s_or_b32 exec_lo, exec_lo, s33
	s_waitcnt lgkmcnt(0)
	s_barrier
	buffer_gl0_inv
	s_and_saveexec_b32 s33, s25
	s_cbranch_execz .LBB1_285
; %bb.284:                              ;   in Loop: Header=BB1_53 Depth=1
	ds_load_b64 v[54:55], v63 offset:28696
	ds_load_b64 v[149:150], v62 offset:28696
	s_waitcnt lgkmcnt(0)
	v_add_co_u32 v54, s30, v149, v54
	s_delay_alu instid0(VALU_DEP_1)
	v_add_co_ci_u32_e64 v55, s30, v150, v55, s30
	ds_store_b64 v62, v[54:55] offset:28696
.LBB1_285:                              ;   in Loop: Header=BB1_53 Depth=1
	s_or_b32 exec_lo, exec_lo, s33
	s_waitcnt lgkmcnt(0)
	s_barrier
	buffer_gl0_inv
	s_and_saveexec_b32 s33, s26
	s_cbranch_execz .LBB1_287
; %bb.286:                              ;   in Loop: Header=BB1_53 Depth=1
	ds_load_b64 v[54:55], v65 offset:28696
	ds_load_b64 v[149:150], v64 offset:28696
	s_waitcnt lgkmcnt(0)
	v_add_co_u32 v54, s30, v149, v54
	s_delay_alu instid0(VALU_DEP_1)
	v_add_co_ci_u32_e64 v55, s30, v150, v55, s30
	ds_store_b64 v64, v[54:55] offset:28696
.LBB1_287:                              ;   in Loop: Header=BB1_53 Depth=1
	s_or_b32 exec_lo, exec_lo, s33
	s_waitcnt lgkmcnt(0)
	s_barrier
	buffer_gl0_inv
	s_and_saveexec_b32 s33, s27
	s_cbranch_execz .LBB1_289
; %bb.288:                              ;   in Loop: Header=BB1_53 Depth=1
	ds_load_b64 v[54:55], v67 offset:28696
	ds_load_b64 v[149:150], v66 offset:28696
	s_waitcnt lgkmcnt(0)
	v_add_co_u32 v54, s30, v149, v54
	s_delay_alu instid0(VALU_DEP_1)
	v_add_co_ci_u32_e64 v55, s30, v150, v55, s30
	ds_store_b64 v66, v[54:55] offset:28696
.LBB1_289:                              ;   in Loop: Header=BB1_53 Depth=1
	s_or_b32 exec_lo, exec_lo, s33
	s_waitcnt lgkmcnt(0)
	s_barrier
	buffer_gl0_inv
	s_and_saveexec_b32 s33, s28
	s_cbranch_execz .LBB1_291
; %bb.290:                              ;   in Loop: Header=BB1_53 Depth=1
	ds_load_b64 v[54:55], v69 offset:28696
	ds_load_b64 v[149:150], v68 offset:28696
	s_waitcnt lgkmcnt(0)
	v_add_co_u32 v54, s30, v149, v54
	s_delay_alu instid0(VALU_DEP_1)
	v_add_co_ci_u32_e64 v55, s30, v150, v55, s30
	ds_store_b64 v68, v[54:55] offset:28696
.LBB1_291:                              ;   in Loop: Header=BB1_53 Depth=1
	s_or_b32 exec_lo, exec_lo, s33
	s_waitcnt lgkmcnt(0)
	s_barrier
	buffer_gl0_inv
	s_and_saveexec_b32 s33, s29
	s_cbranch_execz .LBB1_293
; %bb.292:                              ;   in Loop: Header=BB1_53 Depth=1
	ds_load_2addr_stride64_b64 v[149:152], v77 offset0:57 offset1:58
	s_waitcnt lgkmcnt(0)
	v_add_co_u32 v54, s30, v151, v149
	s_delay_alu instid0(VALU_DEP_1)
	v_add_co_ci_u32_e64 v55, s30, v152, v150, s30
	ds_store_b64 v53, v[54:55] offset:29720
.LBB1_293:                              ;   in Loop: Header=BB1_53 Depth=1
	s_or_b32 exec_lo, exec_lo, s33
	s_waitcnt lgkmcnt(0)
	s_barrier
	buffer_gl0_inv
	s_barrier
	buffer_gl0_inv
	s_and_saveexec_b32 s33, s29
	s_cbranch_execz .LBB1_295
; %bb.294:                              ;   in Loop: Header=BB1_53 Depth=1
	ds_load_b64 v[149:150], v53 offset:29720
	v_mov_b32_e32 v54, v53
	s_waitcnt lgkmcnt(0)
	ds_store_b64 v53, v[149:150] offset:29728
	s_waitcnt lgkmcnt(0)
	buffer_gl0_inv
	ds_store_b64 v53, v[53:54] offset:29720
	s_waitcnt lgkmcnt(0)
	buffer_gl0_inv
	ds_load_2addr_stride64_b64 v[149:152], v77 offset0:57 offset1:58
	s_waitcnt lgkmcnt(0)
	v_add_co_u32 v54, s30, v151, v149
	s_delay_alu instid0(VALU_DEP_1)
	v_add_co_ci_u32_e64 v55, s30, v152, v150, s30
	ds_store_2addr_stride64_b64 v77, v[151:152], v[54:55] offset0:57 offset1:58
.LBB1_295:                              ;   in Loop: Header=BB1_53 Depth=1
	s_or_b32 exec_lo, exec_lo, s33
	s_waitcnt lgkmcnt(0)
	s_barrier
	buffer_gl0_inv
	s_and_saveexec_b32 s33, s28
	s_cbranch_execz .LBB1_297
; %bb.296:                              ;   in Loop: Header=BB1_53 Depth=1
	ds_load_b64 v[54:55], v69 offset:28696
	ds_load_b64 v[149:150], v68 offset:28696
	s_waitcnt lgkmcnt(0)
	v_add_co_u32 v54, s30, v149, v54
	s_delay_alu instid0(VALU_DEP_1)
	v_add_co_ci_u32_e64 v55, s30, v150, v55, s30
	ds_store_b64 v69, v[149:150] offset:28696
	ds_store_b64 v68, v[54:55] offset:28696
.LBB1_297:                              ;   in Loop: Header=BB1_53 Depth=1
	s_or_b32 exec_lo, exec_lo, s33
	s_waitcnt lgkmcnt(0)
	s_barrier
	buffer_gl0_inv
	s_and_saveexec_b32 s33, s27
	s_cbranch_execz .LBB1_299
; %bb.298:                              ;   in Loop: Header=BB1_53 Depth=1
	ds_load_b64 v[54:55], v67 offset:28696
	ds_load_b64 v[149:150], v66 offset:28696
	s_waitcnt lgkmcnt(0)
	v_add_co_u32 v54, s30, v149, v54
	s_delay_alu instid0(VALU_DEP_1)
	v_add_co_ci_u32_e64 v55, s30, v150, v55, s30
	ds_store_b64 v67, v[149:150] offset:28696
	ds_store_b64 v66, v[54:55] offset:28696
.LBB1_299:                              ;   in Loop: Header=BB1_53 Depth=1
	;; [unrolled: 16-line block ×5, first 2 shown]
	s_or_b32 exec_lo, exec_lo, s33
	s_waitcnt lgkmcnt(0)
	s_barrier
	buffer_gl0_inv
	s_and_saveexec_b32 s33, s23
	s_cbranch_execz .LBB1_307
; %bb.306:                              ;   in Loop: Header=BB1_53 Depth=1
	ds_load_b128 v[149:152], v75
	s_waitcnt lgkmcnt(0)
	v_add_co_u32 v153, s30, v151, v149
	s_delay_alu instid0(VALU_DEP_1)
	v_add_co_ci_u32_e64 v154, s30, v152, v150, s30
	ds_store_b128 v75, v[151:154]
.LBB1_307:                              ;   in Loop: Header=BB1_53 Depth=1
	s_or_b32 exec_lo, exec_lo, s33
	s_waitcnt lgkmcnt(0)
	s_barrier
	buffer_gl0_inv
	s_barrier
	buffer_gl0_inv
	ds_load_b64 v[54:55], v53 offset:29728
	s_waitcnt lgkmcnt(0)
	s_barrier
	buffer_gl0_inv
	ds_load_b64 v[149:150], v59
	s_waitcnt lgkmcnt(0)
	ds_store_b64 v58, v[149:150] offset:24
	s_and_saveexec_b32 s30, s29
	s_cbranch_execz .LBB1_309
; %bb.308:                              ;   in Loop: Header=BB1_53 Depth=1
	ds_store_b64 v53, v[54:55] offset:28696
.LBB1_309:                              ;   in Loop: Header=BB1_53 Depth=1
	s_or_b32 exec_lo, exec_lo, s30
	s_waitcnt lgkmcnt(0)
	s_barrier
	buffer_gl0_inv
	s_and_saveexec_b32 s30, s26
	s_delay_alu instid0(SALU_CYCLE_1)
	s_xor_b32 s30, exec_lo, s30
	s_cbranch_execz .LBB1_311
; %bb.310:                              ;   in Loop: Header=BB1_53 Depth=1
	ds_load_u16 v54, v76 offset:4096
	ds_load_u16 v55, v70 offset:2
	s_waitcnt lgkmcnt(0)
	v_add_nc_u16 v54, v55, v54
	ds_store_b16 v70, v54 offset:2
.LBB1_311:                              ;   in Loop: Header=BB1_53 Depth=1
	s_or_b32 exec_lo, exec_lo, s30
	s_waitcnt lgkmcnt(0)
	s_barrier
	buffer_gl0_inv
	s_and_saveexec_b32 s30, s27
	s_cbranch_execz .LBB1_313
; %bb.312:                              ;   in Loop: Header=BB1_53 Depth=1
	ds_load_u16 v54, v71 offset:28670
	ds_load_u16 v55, v72 offset:28670
	s_waitcnt lgkmcnt(0)
	v_add_nc_u16 v54, v55, v54
	ds_store_b16 v72, v54 offset:28670
.LBB1_313:                              ;   in Loop: Header=BB1_53 Depth=1
	s_or_b32 exec_lo, exec_lo, s30
	s_waitcnt lgkmcnt(0)
	s_barrier
	buffer_gl0_inv
	s_and_saveexec_b32 s30, s28
	;; [unrolled: 13-line block ×3, first 2 shown]
	s_cbranch_execz .LBB1_317
; %bb.316:                              ;   in Loop: Header=BB1_53 Depth=1
	ds_load_u16 v54, v53 offset:28686
	ds_load_u16 v55, v53 offset:28702
	s_waitcnt lgkmcnt(0)
	v_add_nc_u32_e32 v54, v55, v54
	ds_store_b16 v53, v54 offset:28702
.LBB1_317:                              ;   in Loop: Header=BB1_53 Depth=1
	s_or_b32 exec_lo, exec_lo, s30
	s_waitcnt lgkmcnt(0)
	s_barrier
	buffer_gl0_inv
	s_barrier
	buffer_gl0_inv
	s_and_saveexec_b32 s30, s29
	s_cbranch_execz .LBB1_319
; %bb.318:                              ;   in Loop: Header=BB1_53 Depth=1
	ds_load_u16 v54, v53 offset:28702
	s_waitcnt lgkmcnt(0)
	ds_store_b16 v53, v54 offset:29736
	s_waitcnt lgkmcnt(0)
	buffer_gl0_inv
	ds_store_b16 v53, v53 offset:28702
	s_waitcnt lgkmcnt(0)
	buffer_gl0_inv
	ds_load_u16 v54, v53 offset:28686
	ds_load_u16 v55, v53 offset:28702
	s_waitcnt lgkmcnt(0)
	v_add_nc_u32_e32 v54, v55, v54
	ds_store_b16 v53, v55 offset:28686
	ds_store_b16 v53, v54 offset:28702
.LBB1_319:                              ;   in Loop: Header=BB1_53 Depth=1
	s_or_b32 exec_lo, exec_lo, s30
	s_waitcnt lgkmcnt(0)
	s_barrier
	buffer_gl0_inv
	s_and_saveexec_b32 s30, s28
	s_cbranch_execz .LBB1_321
; %bb.320:                              ;   in Loop: Header=BB1_53 Depth=1
	ds_load_u16 v54, v73 offset:28670
	ds_load_u16 v55, v74 offset:28670
	s_waitcnt lgkmcnt(0)
	v_add_nc_u16 v54, v55, v54
	ds_store_b16 v73, v55 offset:28670
	ds_store_b16 v74, v54 offset:28670
.LBB1_321:                              ;   in Loop: Header=BB1_53 Depth=1
	s_or_b32 exec_lo, exec_lo, s30
	s_waitcnt lgkmcnt(0)
	s_barrier
	buffer_gl0_inv
	s_and_saveexec_b32 s30, s27
	s_cbranch_execz .LBB1_323
; %bb.322:                              ;   in Loop: Header=BB1_53 Depth=1
	ds_load_u16 v54, v71 offset:28670
	ds_load_u16 v55, v72 offset:28670
	s_waitcnt lgkmcnt(0)
	v_add_nc_u16 v54, v55, v54
	ds_store_b16 v71, v55 offset:28670
	ds_store_b16 v72, v54 offset:28670
.LBB1_323:                              ;   in Loop: Header=BB1_53 Depth=1
	s_or_b32 exec_lo, exec_lo, s30
	s_waitcnt lgkmcnt(0)
	s_barrier
	buffer_gl0_inv
	s_and_saveexec_b32 s30, s26
	s_cbranch_execz .LBB1_52
; %bb.324:                              ;   in Loop: Header=BB1_53 Depth=1
	ds_load_u16 v54, v76 offset:4096
	ds_load_u16 v55, v70 offset:2
	s_waitcnt lgkmcnt(0)
	v_add_nc_u16 v54, v55, v54
	ds_store_b16 v76, v55 offset:4096
	ds_store_b16 v70, v54 offset:2
	s_branch .LBB1_52
.LBB1_325:
	s_and_saveexec_b32 s23, vcc_lo
	s_cbranch_execnz .LBB1_349
; %bb.326:
	s_or_b32 exec_lo, exec_lo, s23
	s_and_saveexec_b32 s23, s0
	s_cbranch_execnz .LBB1_350
.LBB1_327:
	s_or_b32 exec_lo, exec_lo, s23
	s_and_saveexec_b32 s0, s1
	s_cbranch_execnz .LBB1_351
.LBB1_328:
	s_or_b32 exec_lo, exec_lo, s0
	s_and_saveexec_b32 s0, s2
	s_cbranch_execnz .LBB1_352
.LBB1_329:
	s_or_b32 exec_lo, exec_lo, s0
	s_and_saveexec_b32 s0, s3
	s_cbranch_execnz .LBB1_353
.LBB1_330:
	s_or_b32 exec_lo, exec_lo, s0
	s_and_saveexec_b32 s0, s4
	s_cbranch_execnz .LBB1_354
.LBB1_331:
	s_or_b32 exec_lo, exec_lo, s0
	s_and_saveexec_b32 s0, s5
	s_cbranch_execnz .LBB1_355
.LBB1_332:
	s_or_b32 exec_lo, exec_lo, s0
	s_and_saveexec_b32 s0, s6
	s_cbranch_execnz .LBB1_356
.LBB1_333:
	s_or_b32 exec_lo, exec_lo, s0
	s_and_saveexec_b32 s0, s7
	s_cbranch_execnz .LBB1_357
.LBB1_334:
	s_or_b32 exec_lo, exec_lo, s0
	s_and_saveexec_b32 s0, s8
	s_cbranch_execnz .LBB1_358
.LBB1_335:
	s_or_b32 exec_lo, exec_lo, s0
	s_and_saveexec_b32 s0, s9
	s_cbranch_execnz .LBB1_359
.LBB1_336:
	s_or_b32 exec_lo, exec_lo, s0
	s_and_saveexec_b32 s0, s10
	s_cbranch_execnz .LBB1_360
.LBB1_337:
	s_or_b32 exec_lo, exec_lo, s0
	s_and_saveexec_b32 s0, s11
	s_cbranch_execnz .LBB1_361
.LBB1_338:
	s_or_b32 exec_lo, exec_lo, s0
	s_and_saveexec_b32 s0, s12
	s_cbranch_execnz .LBB1_362
.LBB1_339:
	s_or_b32 exec_lo, exec_lo, s0
	s_and_saveexec_b32 s0, s13
	s_cbranch_execnz .LBB1_363
.LBB1_340:
	s_or_b32 exec_lo, exec_lo, s0
	s_and_saveexec_b32 s0, s14
	s_cbranch_execnz .LBB1_364
.LBB1_341:
	s_or_b32 exec_lo, exec_lo, s0
	s_and_saveexec_b32 s0, s15
	s_cbranch_execnz .LBB1_365
.LBB1_342:
	s_or_b32 exec_lo, exec_lo, s0
	s_and_saveexec_b32 s0, s16
	s_cbranch_execnz .LBB1_366
.LBB1_343:
	s_or_b32 exec_lo, exec_lo, s0
	s_and_saveexec_b32 s0, s17
	s_cbranch_execnz .LBB1_367
.LBB1_344:
	s_or_b32 exec_lo, exec_lo, s0
	s_and_saveexec_b32 s0, s18
	s_cbranch_execnz .LBB1_368
.LBB1_345:
	s_or_b32 exec_lo, exec_lo, s0
	s_and_saveexec_b32 s0, s19
	s_cbranch_execnz .LBB1_369
.LBB1_346:
	s_or_b32 exec_lo, exec_lo, s0
	s_and_saveexec_b32 s0, s20
	s_cbranch_execnz .LBB1_370
.LBB1_347:
	s_or_b32 exec_lo, exec_lo, s0
	s_and_saveexec_b32 s0, s21
	s_cbranch_execnz .LBB1_371
.LBB1_348:
	s_or_b32 exec_lo, exec_lo, s0
	s_and_saveexec_b32 s0, s22
	s_cbranch_execz .LBB1_1
	s_branch .LBB1_372
.LBB1_349:
	s_waitcnt lgkmcnt(11)
	global_store_b32 v56, v1, s[40:41]
	s_waitcnt lgkmcnt(7)
	global_store_b32 v56, v5, s[42:43]
	s_or_b32 exec_lo, exec_lo, s23
	s_and_saveexec_b32 s23, s0
	s_cbranch_execz .LBB1_327
.LBB1_350:
	s_waitcnt lgkmcnt(11)
	global_store_b32 v56, v2, s[40:41] offset:4
	s_waitcnt lgkmcnt(7)
	global_store_b32 v56, v6, s[42:43] offset:4
	s_or_b32 exec_lo, exec_lo, s23
	s_and_saveexec_b32 s0, s1
	s_cbranch_execz .LBB1_328
.LBB1_351:
	s_waitcnt lgkmcnt(11)
	global_store_b32 v56, v3, s[40:41] offset:8
	s_waitcnt lgkmcnt(7)
	global_store_b32 v56, v7, s[42:43] offset:8
	s_or_b32 exec_lo, exec_lo, s0
	s_and_saveexec_b32 s0, s2
	s_cbranch_execz .LBB1_329
.LBB1_352:
	s_waitcnt lgkmcnt(11)
	global_store_b32 v56, v4, s[40:41] offset:12
	s_waitcnt lgkmcnt(7)
	global_store_b32 v56, v8, s[42:43] offset:12
	s_or_b32 exec_lo, exec_lo, s0
	s_and_saveexec_b32 s0, s3
	s_cbranch_execz .LBB1_330
.LBB1_353:
	s_waitcnt lgkmcnt(10)
	global_store_b32 v56, v9, s[40:41] offset:16
	s_waitcnt lgkmcnt(6)
	global_store_b32 v56, v13, s[42:43] offset:16
	s_or_b32 exec_lo, exec_lo, s0
	s_and_saveexec_b32 s0, s4
	s_cbranch_execz .LBB1_331
.LBB1_354:
	s_waitcnt lgkmcnt(10)
	global_store_b32 v56, v10, s[40:41] offset:20
	s_waitcnt lgkmcnt(6)
	global_store_b32 v56, v14, s[42:43] offset:20
	s_or_b32 exec_lo, exec_lo, s0
	s_and_saveexec_b32 s0, s5
	s_cbranch_execz .LBB1_332
.LBB1_355:
	s_waitcnt lgkmcnt(10)
	global_store_b32 v56, v11, s[40:41] offset:24
	s_waitcnt lgkmcnt(6)
	global_store_b32 v56, v15, s[42:43] offset:24
	s_or_b32 exec_lo, exec_lo, s0
	s_and_saveexec_b32 s0, s6
	s_cbranch_execz .LBB1_333
.LBB1_356:
	s_waitcnt lgkmcnt(10)
	global_store_b32 v56, v12, s[40:41] offset:28
	s_waitcnt lgkmcnt(6)
	global_store_b32 v56, v16, s[42:43] offset:28
	s_or_b32 exec_lo, exec_lo, s0
	s_and_saveexec_b32 s0, s7
	s_cbranch_execz .LBB1_334
.LBB1_357:
	s_waitcnt lgkmcnt(9)
	global_store_b32 v56, v17, s[40:41] offset:32
	s_waitcnt lgkmcnt(5)
	global_store_b32 v56, v21, s[42:43] offset:32
	s_or_b32 exec_lo, exec_lo, s0
	s_and_saveexec_b32 s0, s8
	s_cbranch_execz .LBB1_335
.LBB1_358:
	s_waitcnt lgkmcnt(9)
	global_store_b32 v56, v18, s[40:41] offset:36
	s_waitcnt lgkmcnt(5)
	global_store_b32 v56, v22, s[42:43] offset:36
	s_or_b32 exec_lo, exec_lo, s0
	s_and_saveexec_b32 s0, s9
	s_cbranch_execz .LBB1_336
.LBB1_359:
	s_waitcnt lgkmcnt(9)
	global_store_b32 v56, v19, s[40:41] offset:40
	s_waitcnt lgkmcnt(5)
	global_store_b32 v56, v23, s[42:43] offset:40
	s_or_b32 exec_lo, exec_lo, s0
	s_and_saveexec_b32 s0, s10
	s_cbranch_execz .LBB1_337
.LBB1_360:
	s_waitcnt lgkmcnt(9)
	global_store_b32 v56, v20, s[40:41] offset:44
	s_waitcnt lgkmcnt(5)
	global_store_b32 v56, v24, s[42:43] offset:44
	s_or_b32 exec_lo, exec_lo, s0
	s_and_saveexec_b32 s0, s11
	s_cbranch_execz .LBB1_338
.LBB1_361:
	s_waitcnt lgkmcnt(8)
	global_store_b32 v56, v25, s[40:41] offset:48
	s_waitcnt lgkmcnt(4)
	global_store_b32 v56, v29, s[42:43] offset:48
	s_or_b32 exec_lo, exec_lo, s0
	s_and_saveexec_b32 s0, s12
	s_cbranch_execz .LBB1_339
.LBB1_362:
	s_waitcnt lgkmcnt(8)
	global_store_b32 v56, v26, s[40:41] offset:52
	s_waitcnt lgkmcnt(4)
	global_store_b32 v56, v30, s[42:43] offset:52
	s_or_b32 exec_lo, exec_lo, s0
	s_and_saveexec_b32 s0, s13
	s_cbranch_execz .LBB1_340
.LBB1_363:
	s_waitcnt lgkmcnt(8)
	global_store_b32 v56, v27, s[40:41] offset:56
	s_waitcnt lgkmcnt(4)
	global_store_b32 v56, v31, s[42:43] offset:56
	s_or_b32 exec_lo, exec_lo, s0
	s_and_saveexec_b32 s0, s14
	s_cbranch_execz .LBB1_341
.LBB1_364:
	s_waitcnt lgkmcnt(8)
	global_store_b32 v56, v28, s[40:41] offset:60
	s_waitcnt lgkmcnt(4)
	global_store_b32 v56, v32, s[42:43] offset:60
	s_or_b32 exec_lo, exec_lo, s0
	s_and_saveexec_b32 s0, s15
	s_cbranch_execz .LBB1_342
.LBB1_365:
	s_waitcnt lgkmcnt(3)
	global_store_b32 v56, v33, s[40:41] offset:64
	s_waitcnt lgkmcnt(1)
	global_store_b32 v56, v37, s[42:43] offset:64
	s_or_b32 exec_lo, exec_lo, s0
	s_and_saveexec_b32 s0, s16
	s_cbranch_execz .LBB1_343
.LBB1_366:
	s_waitcnt lgkmcnt(3)
	global_store_b32 v56, v34, s[40:41] offset:68
	s_waitcnt lgkmcnt(1)
	global_store_b32 v56, v38, s[42:43] offset:68
	s_or_b32 exec_lo, exec_lo, s0
	s_and_saveexec_b32 s0, s17
	s_cbranch_execz .LBB1_344
.LBB1_367:
	s_waitcnt lgkmcnt(3)
	global_store_b32 v56, v35, s[40:41] offset:72
	s_waitcnt lgkmcnt(1)
	global_store_b32 v56, v39, s[42:43] offset:72
	s_or_b32 exec_lo, exec_lo, s0
	s_and_saveexec_b32 s0, s18
	s_cbranch_execz .LBB1_345
.LBB1_368:
	s_waitcnt lgkmcnt(3)
	global_store_b32 v56, v36, s[40:41] offset:76
	s_waitcnt lgkmcnt(1)
	global_store_b32 v56, v40, s[42:43] offset:76
	s_or_b32 exec_lo, exec_lo, s0
	s_and_saveexec_b32 s0, s19
	s_cbranch_execz .LBB1_346
.LBB1_369:
	s_waitcnt lgkmcnt(2)
	global_store_b32 v56, v41, s[40:41] offset:80
	s_waitcnt lgkmcnt(0)
	global_store_b32 v56, v45, s[42:43] offset:80
	s_or_b32 exec_lo, exec_lo, s0
	s_and_saveexec_b32 s0, s20
	s_cbranch_execz .LBB1_347
.LBB1_370:
	s_waitcnt lgkmcnt(2)
	global_store_b32 v56, v42, s[40:41] offset:84
	s_waitcnt lgkmcnt(0)
	global_store_b32 v56, v46, s[42:43] offset:84
	s_or_b32 exec_lo, exec_lo, s0
	s_and_saveexec_b32 s0, s21
	s_cbranch_execz .LBB1_348
.LBB1_371:
	s_waitcnt lgkmcnt(2)
	global_store_b32 v56, v43, s[40:41] offset:88
	s_waitcnt lgkmcnt(0)
	global_store_b32 v56, v47, s[42:43] offset:88
	s_or_b32 exec_lo, exec_lo, s0
	s_and_saveexec_b32 s0, s22
	s_cbranch_execz .LBB1_1
.LBB1_372:
	s_waitcnt lgkmcnt(2)
	global_store_b32 v56, v44, s[40:41] offset:92
	s_waitcnt lgkmcnt(0)
	global_store_b32 v56, v48, s[42:43] offset:92
	s_nop 0
	s_sendmsg sendmsg(MSG_DEALLOC_VGPRS)
	s_endpgm
	.section	.rodata,"a",@progbits
	.p2align	6, 0x0
	.amdhsa_kernel SortSinglePassKVKernel
		.amdhsa_group_segment_fixed_size 29744
		.amdhsa_private_segment_fixed_size 0
		.amdhsa_kernarg_size 44
		.amdhsa_user_sgpr_count 15
		.amdhsa_user_sgpr_dispatch_ptr 0
		.amdhsa_user_sgpr_queue_ptr 0
		.amdhsa_user_sgpr_kernarg_segment_ptr 1
		.amdhsa_user_sgpr_dispatch_id 0
		.amdhsa_user_sgpr_private_segment_size 0
		.amdhsa_wavefront_size32 1
		.amdhsa_uses_dynamic_stack 0
		.amdhsa_enable_private_segment 0
		.amdhsa_system_sgpr_workgroup_id_x 1
		.amdhsa_system_sgpr_workgroup_id_y 0
		.amdhsa_system_sgpr_workgroup_id_z 0
		.amdhsa_system_sgpr_workgroup_info 0
		.amdhsa_system_vgpr_workitem_id 0
		.amdhsa_next_free_vgpr 155
		.amdhsa_next_free_sgpr 48
		.amdhsa_reserve_vcc 1
		.amdhsa_float_round_mode_32 0
		.amdhsa_float_round_mode_16_64 0
		.amdhsa_float_denorm_mode_32 3
		.amdhsa_float_denorm_mode_16_64 3
		.amdhsa_dx10_clamp 1
		.amdhsa_ieee_mode 1
		.amdhsa_fp16_overflow 0
		.amdhsa_workgroup_processor_mode 1
		.amdhsa_memory_ordered 1
		.amdhsa_forward_progress 0
		.amdhsa_shared_vgpr_count 0
		.amdhsa_exception_fp_ieee_invalid_op 0
		.amdhsa_exception_fp_denorm_src 0
		.amdhsa_exception_fp_ieee_div_zero 0
		.amdhsa_exception_fp_ieee_overflow 0
		.amdhsa_exception_fp_ieee_underflow 0
		.amdhsa_exception_fp_ieee_inexact 0
		.amdhsa_exception_int_div_zero 0
	.end_amdhsa_kernel
	.text
.Lfunc_end1:
	.size	SortSinglePassKVKernel, .Lfunc_end1-SortSinglePassKVKernel
                                        ; -- End function
	.section	.AMDGPU.csdata,"",@progbits
; Kernel info:
; codeLenInByte = 21456
; NumSgprs: 50
; NumVgprs: 155
; ScratchSize: 0
; MemoryBound: 0
; FloatMode: 240
; IeeeMode: 1
; LDSByteSize: 29744 bytes/workgroup (compile time only)
; SGPRBlocks: 6
; VGPRBlocks: 19
; NumSGPRsForWavesPerEU: 50
; NumVGPRsForWavesPerEU: 155
; Occupancy: 9
; WaveLimiterHint : 0
; COMPUTE_PGM_RSRC2:SCRATCH_EN: 0
; COMPUTE_PGM_RSRC2:USER_SGPR: 15
; COMPUTE_PGM_RSRC2:TRAP_HANDLER: 0
; COMPUTE_PGM_RSRC2:TGID_X_EN: 1
; COMPUTE_PGM_RSRC2:TGID_Y_EN: 0
; COMPUTE_PGM_RSRC2:TGID_Z_EN: 0
; COMPUTE_PGM_RSRC2:TIDIG_COMP_CNT: 0
	.text
	.protected	GHistogram              ; -- Begin function GHistogram
	.globl	GHistogram
	.p2align	8
	.type	GHistogram,@function
GHistogram:                             ; @GHistogram
; %bb.0:
	v_cmp_gt_u32_e64 s2, 0x100, v0
	v_lshlrev_b32_e32 v3, 2, v0
	s_delay_alu instid0(VALU_DEP_2)
	s_and_saveexec_b32 s3, s2
	s_cbranch_execz .LBB2_2
; %bb.1:
	v_mov_b32_e32 v1, 0
	ds_store_2addr_stride64_b32 v3, v1, v1 offset1:4
	ds_store_2addr_stride64_b32 v3, v1, v1 offset0:8 offset1:12
.LBB2_2:
	s_or_b32 exec_lo, exec_lo, s3
	s_clause 0x3
	s_load_b32 s8, s[0:1], 0x8
	s_load_b32 s9, s[0:1], 0x18
	s_load_b64 s[4:5], s[0:1], 0x0
	s_load_b64 s[6:7], s[0:1], 0x20
	v_cmp_eq_u32_e64 s3, 0, v0
	v_dual_mov_b32 v5, -1 :: v_dual_lshlrev_b32 v4, 3, v0
	v_mov_b32_e32 v2, 0
	s_waitcnt lgkmcnt(0)
	s_add_i32 s13, s8, 0x7ff
	s_add_i32 s10, s9, 8
	;; [unrolled: 1-line block ×4, first 2 shown]
	s_lshr_b32 s13, s13, 11
	s_add_u32 s14, s4, 4
	s_addc_u32 s15, s5, 0
	s_add_u32 s16, s4, 8
	s_addc_u32 s17, s5, 0
	;; [unrolled: 2-line block ×7, first 2 shown]
	s_branch .LBB2_5
.LBB2_3:                                ;   in Loop: Header=BB2_5 Depth=1
	s_or_b32 exec_lo, exec_lo, s28
	s_mov_b32 s28, 0
	s_waitcnt lgkmcnt(0)
	s_barrier
	buffer_gl0_inv
.LBB2_4:                                ;   in Loop: Header=BB2_5 Depth=1
	s_and_b32 vcc_lo, exec_lo, s28
	s_cbranch_vccnz .LBB2_24
.LBB2_5:                                ; =>This Inner Loop Header: Depth=1
	s_and_saveexec_b32 s28, s3
	s_cbranch_execz .LBB2_7
; %bb.6:                                ;   in Loop: Header=BB2_5 Depth=1
	global_atomic_inc_u32 v1, v2, v5, s[6:7] glc
	s_waitcnt vmcnt(0)
	ds_store_b32 v2, v1 offset:4096
.LBB2_7:                                ;   in Loop: Header=BB2_5 Depth=1
	s_or_b32 exec_lo, exec_lo, s28
	s_waitcnt lgkmcnt(0)
	s_barrier
	buffer_gl0_inv
	ds_load_b32 v1, v2 offset:4096
	s_mov_b32 s28, -1
	s_waitcnt lgkmcnt(0)
	v_cmp_le_u32_e32 vcc_lo, s13, v1
	s_cbranch_vccnz .LBB2_4
; %bb.8:                                ;   in Loop: Header=BB2_5 Depth=1
	v_lshl_add_u32 v1, v1, 11, v4
	s_mov_b32 s28, exec_lo
	s_delay_alu instid0(VALU_DEP_1)
	v_cmpx_gt_u32_e64 s8, v1
	s_cbranch_execz .LBB2_10
; %bb.9:                                ;   in Loop: Header=BB2_5 Depth=1
	v_lshlrev_b64 v[6:7], 2, v[1:2]
	s_delay_alu instid0(VALU_DEP_1) | instskip(NEXT) | instid1(VALU_DEP_2)
	v_add_co_u32 v6, vcc_lo, s4, v6
	v_add_co_ci_u32_e32 v7, vcc_lo, s5, v7, vcc_lo
	global_load_b32 v6, v[6:7], off
	s_waitcnt vmcnt(0)
	v_bfe_u32 v7, v6, s9, 8
	v_bfe_u32 v8, v6, s10, 8
	;; [unrolled: 1-line block ×4, first 2 shown]
	s_delay_alu instid0(VALU_DEP_4) | instskip(NEXT) | instid1(VALU_DEP_4)
	v_lshlrev_b32_e32 v7, 2, v7
	v_lshlrev_b32_e32 v8, 2, v8
	s_delay_alu instid0(VALU_DEP_4) | instskip(NEXT) | instid1(VALU_DEP_4)
	v_lshlrev_b32_e32 v9, 2, v9
	v_lshlrev_b32_e32 v6, 2, v6
	ds_inc_u32 v7, v5
	ds_inc_u32 v8, v5 offset:1024
	ds_inc_u32 v9, v5 offset:2048
	;; [unrolled: 1-line block ×3, first 2 shown]
.LBB2_10:                               ;   in Loop: Header=BB2_5 Depth=1
	s_or_b32 exec_lo, exec_lo, s28
	v_or_b32_e32 v6, 1, v1
	s_mov_b32 s28, exec_lo
	s_delay_alu instid0(VALU_DEP_1)
	v_cmpx_gt_u32_e64 s8, v6
	s_cbranch_execz .LBB2_12
; %bb.11:                               ;   in Loop: Header=BB2_5 Depth=1
	v_lshlrev_b64 v[6:7], 2, v[1:2]
	s_delay_alu instid0(VALU_DEP_1) | instskip(NEXT) | instid1(VALU_DEP_2)
	v_add_co_u32 v6, vcc_lo, s14, v6
	v_add_co_ci_u32_e32 v7, vcc_lo, s15, v7, vcc_lo
	global_load_b32 v6, v[6:7], off
	s_waitcnt vmcnt(0)
	v_bfe_u32 v7, v6, s9, 8
	v_bfe_u32 v8, v6, s10, 8
	v_bfe_u32 v9, v6, s11, 8
	v_bfe_u32 v6, v6, s12, 8
	s_delay_alu instid0(VALU_DEP_4) | instskip(NEXT) | instid1(VALU_DEP_4)
	v_lshlrev_b32_e32 v7, 2, v7
	v_lshlrev_b32_e32 v8, 2, v8
	s_delay_alu instid0(VALU_DEP_4) | instskip(NEXT) | instid1(VALU_DEP_4)
	v_lshlrev_b32_e32 v9, 2, v9
	v_lshlrev_b32_e32 v6, 2, v6
	ds_inc_u32 v7, v5
	ds_inc_u32 v8, v5 offset:1024
	ds_inc_u32 v9, v5 offset:2048
	ds_inc_u32 v6, v5 offset:3072
.LBB2_12:                               ;   in Loop: Header=BB2_5 Depth=1
	s_or_b32 exec_lo, exec_lo, s28
	v_or_b32_e32 v6, 2, v1
	s_mov_b32 s28, exec_lo
	s_delay_alu instid0(VALU_DEP_1)
	v_cmpx_gt_u32_e64 s8, v6
	s_cbranch_execz .LBB2_14
; %bb.13:                               ;   in Loop: Header=BB2_5 Depth=1
	v_lshlrev_b64 v[6:7], 2, v[1:2]
	s_delay_alu instid0(VALU_DEP_1) | instskip(NEXT) | instid1(VALU_DEP_2)
	v_add_co_u32 v6, vcc_lo, s16, v6
	v_add_co_ci_u32_e32 v7, vcc_lo, s17, v7, vcc_lo
	global_load_b32 v6, v[6:7], off
	s_waitcnt vmcnt(0)
	v_bfe_u32 v7, v6, s9, 8
	v_bfe_u32 v8, v6, s10, 8
	v_bfe_u32 v9, v6, s11, 8
	v_bfe_u32 v6, v6, s12, 8
	s_delay_alu instid0(VALU_DEP_4) | instskip(NEXT) | instid1(VALU_DEP_4)
	v_lshlrev_b32_e32 v7, 2, v7
	v_lshlrev_b32_e32 v8, 2, v8
	s_delay_alu instid0(VALU_DEP_4) | instskip(NEXT) | instid1(VALU_DEP_4)
	v_lshlrev_b32_e32 v9, 2, v9
	v_lshlrev_b32_e32 v6, 2, v6
	ds_inc_u32 v7, v5
	ds_inc_u32 v8, v5 offset:1024
	ds_inc_u32 v9, v5 offset:2048
	ds_inc_u32 v6, v5 offset:3072
.LBB2_14:                               ;   in Loop: Header=BB2_5 Depth=1
	;; [unrolled: 28-line block ×6, first 2 shown]
	s_or_b32 exec_lo, exec_lo, s28
	v_or_b32_e32 v6, 7, v1
	s_mov_b32 s28, exec_lo
	s_delay_alu instid0(VALU_DEP_1)
	v_cmpx_gt_u32_e64 s8, v6
	s_cbranch_execz .LBB2_3
; %bb.23:                               ;   in Loop: Header=BB2_5 Depth=1
	v_lshlrev_b64 v[6:7], 2, v[1:2]
	s_delay_alu instid0(VALU_DEP_1) | instskip(NEXT) | instid1(VALU_DEP_2)
	v_add_co_u32 v6, vcc_lo, s26, v6
	v_add_co_ci_u32_e32 v7, vcc_lo, s27, v7, vcc_lo
	global_load_b32 v1, v[6:7], off
	s_waitcnt vmcnt(0)
	v_bfe_u32 v6, v1, s9, 8
	v_bfe_u32 v7, v1, s10, 8
	;; [unrolled: 1-line block ×4, first 2 shown]
	s_delay_alu instid0(VALU_DEP_4) | instskip(NEXT) | instid1(VALU_DEP_4)
	v_lshlrev_b32_e32 v6, 2, v6
	v_lshlrev_b32_e32 v7, 2, v7
	s_delay_alu instid0(VALU_DEP_4) | instskip(NEXT) | instid1(VALU_DEP_4)
	v_lshlrev_b32_e32 v8, 2, v8
	v_lshlrev_b32_e32 v1, 2, v1
	ds_inc_u32 v6, v5
	ds_inc_u32 v7, v5 offset:1024
	ds_inc_u32 v8, v5 offset:2048
	;; [unrolled: 1-line block ×3, first 2 shown]
	s_branch .LBB2_3
.LBB2_24:
	v_cmp_gt_u32_e32 vcc_lo, 0x100, v0
	v_mov_b32_e32 v1, 0
	s_and_saveexec_b32 s3, vcc_lo
	s_cbranch_execz .LBB2_26
; %bb.25:
	ds_load_b32 v1, v3
.LBB2_26:
	s_or_b32 exec_lo, exec_lo, s3
	v_add_nc_u32_e32 v4, 0xffffff00, v0
	s_waitcnt lgkmcnt(0)
	v_mov_b32_e32 v2, v1
	s_delay_alu instid0(VALU_DEP_2) | instskip(NEXT) | instid1(VALU_DEP_1)
	v_cmp_lt_u32_e64 s4, 0xffffff00, v4
	s_and_saveexec_b32 s3, s4
	s_cbranch_execz .LBB2_28
; %bb.27:
	v_add_nc_u32_e32 v2, -4, v3
	ds_load_b32 v2, v2
	s_waitcnt lgkmcnt(0)
	v_add_nc_u32_e32 v2, v2, v1
.LBB2_28:
	s_or_b32 exec_lo, exec_lo, s3
	s_barrier
	buffer_gl0_inv
	s_and_saveexec_b32 s3, vcc_lo
	s_cbranch_execz .LBB2_30
; %bb.29:
	ds_store_b32 v3, v2
.LBB2_30:
	s_or_b32 exec_lo, exec_lo, s3
	v_cmp_lt_u32_e64 s3, 0xffffff01, v4
	s_waitcnt lgkmcnt(0)
	s_barrier
	buffer_gl0_inv
	s_and_saveexec_b32 s5, s3
	s_cbranch_execz .LBB2_32
; %bb.31:
	v_add_nc_u32_e32 v5, -8, v3
	ds_load_b32 v5, v5
	s_waitcnt lgkmcnt(0)
	v_add_nc_u32_e32 v2, v5, v2
.LBB2_32:
	s_or_b32 exec_lo, exec_lo, s5
	s_barrier
	buffer_gl0_inv
	s_and_saveexec_b32 s5, vcc_lo
	s_cbranch_execz .LBB2_34
; %bb.33:
	ds_store_b32 v3, v2
.LBB2_34:
	s_or_b32 exec_lo, exec_lo, s5
	v_cmp_lt_u32_e64 s5, 0xffffff03, v4
	s_waitcnt lgkmcnt(0)
	s_barrier
	buffer_gl0_inv
	s_and_saveexec_b32 s6, s5
	s_cbranch_execz .LBB2_36
; %bb.35:
	v_add_nc_u32_e32 v5, -16, v3
	ds_load_b32 v5, v5
	s_waitcnt lgkmcnt(0)
	v_add_nc_u32_e32 v2, v5, v2
.LBB2_36:
	s_or_b32 exec_lo, exec_lo, s6
	s_barrier
	buffer_gl0_inv
	s_and_saveexec_b32 s6, vcc_lo
	s_cbranch_execz .LBB2_38
; %bb.37:
	ds_store_b32 v3, v2
.LBB2_38:
	s_or_b32 exec_lo, exec_lo, s6
	v_cmp_lt_u32_e64 s6, 0xffffff07, v4
	s_waitcnt lgkmcnt(0)
	s_barrier
	buffer_gl0_inv
	s_and_saveexec_b32 s7, s6
	s_cbranch_execz .LBB2_40
; %bb.39:
	v_subrev_nc_u32_e32 v5, 32, v3
	ds_load_b32 v5, v5
	s_waitcnt lgkmcnt(0)
	v_add_nc_u32_e32 v2, v5, v2
.LBB2_40:
	s_or_b32 exec_lo, exec_lo, s7
	s_barrier
	buffer_gl0_inv
	s_and_saveexec_b32 s7, vcc_lo
	s_cbranch_execz .LBB2_42
; %bb.41:
	ds_store_b32 v3, v2
.LBB2_42:
	s_or_b32 exec_lo, exec_lo, s7
	v_cmp_lt_u32_e64 s7, 0xffffff0f, v4
	s_waitcnt lgkmcnt(0)
	s_barrier
	buffer_gl0_inv
	s_and_saveexec_b32 s8, s7
	s_cbranch_execz .LBB2_44
; %bb.43:
	v_subrev_nc_u32_e32 v5, 64, v3
	ds_load_b32 v5, v5
	s_waitcnt lgkmcnt(0)
	v_add_nc_u32_e32 v2, v5, v2
.LBB2_44:
	s_or_b32 exec_lo, exec_lo, s8
	s_barrier
	buffer_gl0_inv
	s_and_saveexec_b32 s8, vcc_lo
	s_cbranch_execz .LBB2_46
; %bb.45:
	ds_store_b32 v3, v2
.LBB2_46:
	s_or_b32 exec_lo, exec_lo, s8
	v_cmp_lt_u32_e64 s8, 0xffffff1f, v4
	s_waitcnt lgkmcnt(0)
	s_barrier
	buffer_gl0_inv
	s_and_saveexec_b32 s9, s8
	s_cbranch_execz .LBB2_48
; %bb.47:
	v_add_nc_u32_e32 v5, 0xffffff80, v3
	ds_load_b32 v5, v5
	s_waitcnt lgkmcnt(0)
	v_add_nc_u32_e32 v2, v5, v2
.LBB2_48:
	s_or_b32 exec_lo, exec_lo, s9
	s_barrier
	buffer_gl0_inv
	s_and_saveexec_b32 s9, vcc_lo
	s_cbranch_execz .LBB2_50
; %bb.49:
	ds_store_b32 v3, v2
.LBB2_50:
	s_or_b32 exec_lo, exec_lo, s9
	v_cmp_lt_u32_e64 s9, 0xffffff3f, v4
	s_waitcnt lgkmcnt(0)
	s_barrier
	buffer_gl0_inv
	s_and_saveexec_b32 s10, s9
	s_cbranch_execz .LBB2_52
; %bb.51:
	v_add_nc_u32_e32 v4, 0xffffff00, v3
	ds_load_b32 v4, v4
	s_waitcnt lgkmcnt(0)
	v_add_nc_u32_e32 v2, v4, v2
.LBB2_52:
	s_or_b32 exec_lo, exec_lo, s10
	s_barrier
	buffer_gl0_inv
	s_and_saveexec_b32 s10, vcc_lo
	s_cbranch_execz .LBB2_54
; %bb.53:
	ds_store_b32 v3, v2
.LBB2_54:
	s_or_b32 exec_lo, exec_lo, s10
	v_and_b32_e32 v0, 0x380, v0
	s_waitcnt lgkmcnt(0)
	s_barrier
	buffer_gl0_inv
	v_cmp_eq_u32_e64 s10, 0x80, v0
	s_delay_alu instid0(VALU_DEP_1)
	s_and_saveexec_b32 s11, s10
	s_cbranch_execz .LBB2_56
; %bb.55:
	v_add_nc_u32_e32 v0, 0xfffffe00, v3
	ds_load_b32 v0, v0
	s_waitcnt lgkmcnt(0)
	v_add_nc_u32_e32 v2, v0, v2
.LBB2_56:
	s_or_b32 exec_lo, exec_lo, s11
	s_barrier
	buffer_gl0_inv
	s_and_saveexec_b32 s11, vcc_lo
	s_cbranch_execz .LBB2_58
; %bb.57:
	ds_store_b32 v3, v2
.LBB2_58:
	s_or_b32 exec_lo, exec_lo, s11
	s_waitcnt lgkmcnt(0)
	s_barrier
	buffer_gl0_inv
	s_barrier
	buffer_gl0_inv
	s_and_saveexec_b32 s11, vcc_lo
	s_cbranch_execz .LBB2_60
; %bb.59:
	v_sub_nc_u32_e32 v0, v2, v1
	ds_store_b32 v3, v0
.LBB2_60:
	s_or_b32 exec_lo, exec_lo, s11
	v_mov_b32_e32 v0, 0
	s_waitcnt lgkmcnt(0)
	s_barrier
	buffer_gl0_inv
	s_and_saveexec_b32 s11, vcc_lo
	s_cbranch_execz .LBB2_62
; %bb.61:
	ds_load_b32 v0, v3 offset:1024
.LBB2_62:
	s_or_b32 exec_lo, exec_lo, s11
	s_waitcnt lgkmcnt(0)
	v_mov_b32_e32 v1, v0
	s_and_saveexec_b32 s11, s4
	s_cbranch_execz .LBB2_64
; %bb.63:
	ds_load_b32 v1, v3 offset:1020
	s_waitcnt lgkmcnt(0)
	v_add_nc_u32_e32 v1, v1, v0
.LBB2_64:
	s_or_b32 exec_lo, exec_lo, s11
	s_barrier
	buffer_gl0_inv
	s_and_saveexec_b32 s11, vcc_lo
	s_cbranch_execz .LBB2_66
; %bb.65:
	ds_store_b32 v3, v1 offset:1024
.LBB2_66:
	s_or_b32 exec_lo, exec_lo, s11
	s_waitcnt lgkmcnt(0)
	s_barrier
	buffer_gl0_inv
	s_and_saveexec_b32 s11, s3
	s_cbranch_execz .LBB2_68
; %bb.67:
	ds_load_b32 v2, v3 offset:1016
	s_waitcnt lgkmcnt(0)
	v_add_nc_u32_e32 v1, v2, v1
.LBB2_68:
	s_or_b32 exec_lo, exec_lo, s11
	s_barrier
	buffer_gl0_inv
	s_and_saveexec_b32 s11, vcc_lo
	s_cbranch_execz .LBB2_70
; %bb.69:
	ds_store_b32 v3, v1 offset:1024
.LBB2_70:
	s_or_b32 exec_lo, exec_lo, s11
	s_waitcnt lgkmcnt(0)
	s_barrier
	buffer_gl0_inv
	;; [unrolled: 19-line block ×8, first 2 shown]
	s_barrier
	buffer_gl0_inv
	s_and_saveexec_b32 s11, vcc_lo
	s_cbranch_execz .LBB2_96
; %bb.95:
	v_sub_nc_u32_e32 v0, v1, v0
	ds_store_b32 v3, v0 offset:1024
.LBB2_96:
	s_or_b32 exec_lo, exec_lo, s11
	v_mov_b32_e32 v0, 0
	s_waitcnt lgkmcnt(0)
	s_barrier
	buffer_gl0_inv
	s_and_saveexec_b32 s11, vcc_lo
	s_cbranch_execz .LBB2_98
; %bb.97:
	ds_load_b32 v0, v3 offset:2048
.LBB2_98:
	s_or_b32 exec_lo, exec_lo, s11
	s_waitcnt lgkmcnt(0)
	v_mov_b32_e32 v1, v0
	s_and_saveexec_b32 s11, s4
	s_cbranch_execz .LBB2_100
; %bb.99:
	ds_load_b32 v1, v3 offset:2044
	s_waitcnt lgkmcnt(0)
	v_add_nc_u32_e32 v1, v1, v0
.LBB2_100:
	s_or_b32 exec_lo, exec_lo, s11
	s_barrier
	buffer_gl0_inv
	s_and_saveexec_b32 s11, vcc_lo
	s_cbranch_execz .LBB2_102
; %bb.101:
	ds_store_b32 v3, v1 offset:2048
.LBB2_102:
	s_or_b32 exec_lo, exec_lo, s11
	s_waitcnt lgkmcnt(0)
	s_barrier
	buffer_gl0_inv
	s_and_saveexec_b32 s11, s3
	s_cbranch_execz .LBB2_104
; %bb.103:
	ds_load_b32 v2, v3 offset:2040
	s_waitcnt lgkmcnt(0)
	v_add_nc_u32_e32 v1, v2, v1
.LBB2_104:
	s_or_b32 exec_lo, exec_lo, s11
	s_barrier
	buffer_gl0_inv
	s_and_saveexec_b32 s11, vcc_lo
	s_cbranch_execz .LBB2_106
; %bb.105:
	ds_store_b32 v3, v1 offset:2048
.LBB2_106:
	s_or_b32 exec_lo, exec_lo, s11
	s_waitcnt lgkmcnt(0)
	s_barrier
	buffer_gl0_inv
	;; [unrolled: 19-line block ×8, first 2 shown]
	s_barrier
	buffer_gl0_inv
	s_and_saveexec_b32 s11, vcc_lo
	s_cbranch_execz .LBB2_132
; %bb.131:
	v_sub_nc_u32_e32 v0, v1, v0
	ds_store_b32 v3, v0 offset:2048
.LBB2_132:
	s_or_b32 exec_lo, exec_lo, s11
	v_mov_b32_e32 v0, 0
	s_waitcnt lgkmcnt(0)
	s_barrier
	buffer_gl0_inv
	s_and_saveexec_b32 s11, vcc_lo
	s_cbranch_execz .LBB2_134
; %bb.133:
	ds_load_b32 v0, v3 offset:3072
.LBB2_134:
	s_or_b32 exec_lo, exec_lo, s11
	s_waitcnt lgkmcnt(0)
	v_mov_b32_e32 v1, v0
	s_and_saveexec_b32 s11, s4
	s_cbranch_execz .LBB2_136
; %bb.135:
	ds_load_b32 v1, v3 offset:3068
	s_waitcnt lgkmcnt(0)
	v_add_nc_u32_e32 v1, v1, v0
.LBB2_136:
	s_or_b32 exec_lo, exec_lo, s11
	s_barrier
	buffer_gl0_inv
	s_and_saveexec_b32 s4, vcc_lo
	s_cbranch_execz .LBB2_138
; %bb.137:
	ds_store_b32 v3, v1 offset:3072
.LBB2_138:
	s_or_b32 exec_lo, exec_lo, s4
	s_waitcnt lgkmcnt(0)
	s_barrier
	buffer_gl0_inv
	s_and_saveexec_b32 s4, s3
	s_cbranch_execz .LBB2_140
; %bb.139:
	ds_load_b32 v2, v3 offset:3064
	s_waitcnt lgkmcnt(0)
	v_add_nc_u32_e32 v1, v2, v1
.LBB2_140:
	s_or_b32 exec_lo, exec_lo, s4
	s_barrier
	buffer_gl0_inv
	s_and_saveexec_b32 s3, vcc_lo
	s_cbranch_execz .LBB2_142
; %bb.141:
	ds_store_b32 v3, v1 offset:3072
.LBB2_142:
	s_or_b32 exec_lo, exec_lo, s3
	s_waitcnt lgkmcnt(0)
	s_barrier
	buffer_gl0_inv
	;; [unrolled: 19-line block ×8, first 2 shown]
	s_barrier
	buffer_gl0_inv
	s_and_saveexec_b32 s3, vcc_lo
	s_cbranch_execz .LBB2_168
; %bb.167:
	v_sub_nc_u32_e32 v0, v1, v0
	ds_store_b32 v3, v0 offset:3072
.LBB2_168:
	s_or_b32 exec_lo, exec_lo, s3
	s_waitcnt lgkmcnt(0)
	s_barrier
	buffer_gl0_inv
	s_and_saveexec_b32 s3, s2
	s_cbranch_execz .LBB2_170
; %bb.169:
	s_load_b64 s[0:1], s[0:1], 0x10
	ds_load_b32 v0, v3
	s_waitcnt lgkmcnt(0)
	global_atomic_add_u32 v3, v0, s[0:1]
	ds_load_b32 v0, v3 offset:1024
	s_waitcnt lgkmcnt(0)
	global_atomic_add_u32 v3, v0, s[0:1] offset:1024
	ds_load_b32 v0, v3 offset:2048
	s_waitcnt lgkmcnt(0)
	global_atomic_add_u32 v3, v0, s[0:1] offset:2048
	ds_load_b32 v0, v3 offset:3072
	s_waitcnt lgkmcnt(0)
	global_atomic_add_u32 v3, v0, s[0:1] offset:3072
.LBB2_170:
	s_nop 0
	s_sendmsg sendmsg(MSG_DEALLOC_VGPRS)
	s_endpgm
	.section	.rodata,"a",@progbits
	.p2align	6, 0x0
	.amdhsa_kernel GHistogram
		.amdhsa_group_segment_fixed_size 4100
		.amdhsa_private_segment_fixed_size 0
		.amdhsa_kernarg_size 40
		.amdhsa_user_sgpr_count 15
		.amdhsa_user_sgpr_dispatch_ptr 0
		.amdhsa_user_sgpr_queue_ptr 0
		.amdhsa_user_sgpr_kernarg_segment_ptr 1
		.amdhsa_user_sgpr_dispatch_id 0
		.amdhsa_user_sgpr_private_segment_size 0
		.amdhsa_wavefront_size32 1
		.amdhsa_uses_dynamic_stack 0
		.amdhsa_enable_private_segment 0
		.amdhsa_system_sgpr_workgroup_id_x 1
		.amdhsa_system_sgpr_workgroup_id_y 0
		.amdhsa_system_sgpr_workgroup_id_z 0
		.amdhsa_system_sgpr_workgroup_info 0
		.amdhsa_system_vgpr_workitem_id 0
		.amdhsa_next_free_vgpr 10
		.amdhsa_next_free_sgpr 29
		.amdhsa_reserve_vcc 1
		.amdhsa_float_round_mode_32 0
		.amdhsa_float_round_mode_16_64 0
		.amdhsa_float_denorm_mode_32 3
		.amdhsa_float_denorm_mode_16_64 3
		.amdhsa_dx10_clamp 1
		.amdhsa_ieee_mode 1
		.amdhsa_fp16_overflow 0
		.amdhsa_workgroup_processor_mode 1
		.amdhsa_memory_ordered 1
		.amdhsa_forward_progress 0
		.amdhsa_shared_vgpr_count 0
		.amdhsa_exception_fp_ieee_invalid_op 0
		.amdhsa_exception_fp_denorm_src 0
		.amdhsa_exception_fp_ieee_div_zero 0
		.amdhsa_exception_fp_ieee_overflow 0
		.amdhsa_exception_fp_ieee_underflow 0
		.amdhsa_exception_fp_ieee_inexact 0
		.amdhsa_exception_int_div_zero 0
	.end_amdhsa_kernel
	.text
.Lfunc_end2:
	.size	GHistogram, .Lfunc_end2-GHistogram
                                        ; -- End function
	.section	.AMDGPU.csdata,"",@progbits
; Kernel info:
; codeLenInByte = 4568
; NumSgprs: 31
; NumVgprs: 10
; ScratchSize: 0
; MemoryBound: 0
; FloatMode: 240
; IeeeMode: 1
; LDSByteSize: 4100 bytes/workgroup (compile time only)
; SGPRBlocks: 3
; VGPRBlocks: 1
; NumSGPRsForWavesPerEU: 31
; NumVGPRsForWavesPerEU: 10
; Occupancy: 16
; WaveLimiterHint : 1
; COMPUTE_PGM_RSRC2:SCRATCH_EN: 0
; COMPUTE_PGM_RSRC2:USER_SGPR: 15
; COMPUTE_PGM_RSRC2:TRAP_HANDLER: 0
; COMPUTE_PGM_RSRC2:TGID_X_EN: 1
; COMPUTE_PGM_RSRC2:TGID_Y_EN: 0
; COMPUTE_PGM_RSRC2:TGID_Z_EN: 0
; COMPUTE_PGM_RSRC2:TIDIG_COMP_CNT: 0
	.text
	.protected	OnesweepReorderKey64    ; -- Begin function OnesweepReorderKey64
	.globl	OnesweepReorderKey64
	.p2align	8
	.type	OnesweepReorderKey64,@function
OnesweepReorderKey64:                   ; @OnesweepReorderKey64
; %bb.0:
	s_clause 0x1
	s_load_b32 s14, s[0:1], 0x10
	s_load_b128 s[4:7], s[0:1], 0x0
	v_lshrrev_b32_e32 v43, 5, v0
	s_lshl_b32 s16, s15, 12
	v_and_b32_e32 v42, 31, v0
	v_mov_b32_e32 v18, 0
	v_lshlrev_b32_e32 v44, 1, v0
	v_lshl_or_b32 v41, v43, 9, s16
	s_mov_b32 s2, exec_lo
	ds_store_b16 v44, v18 offset:512
	ds_store_b16 v44, v18 offset:1024
	;; [unrolled: 1-line block ×8, first 2 shown]
	v_or_b32_e32 v17, v41, v42
	s_waitcnt lgkmcnt(0)
	s_barrier
	buffer_gl0_inv
                                        ; implicit-def: $vgpr1_vgpr2_vgpr3_vgpr4_vgpr5_vgpr6_vgpr7_vgpr8_vgpr9_vgpr10_vgpr11_vgpr12_vgpr13_vgpr14_vgpr15_vgpr16
	v_cmpx_gt_u32_e64 s14, v17
	s_cbranch_execz .LBB3_2
; %bb.1:
	v_lshlrev_b64 v[1:2], 2, v[17:18]
	s_delay_alu instid0(VALU_DEP_1) | instskip(NEXT) | instid1(VALU_DEP_2)
	v_add_co_u32 v1, vcc_lo, s4, v1
	v_add_co_ci_u32_e32 v2, vcc_lo, s5, v2, vcc_lo
	global_load_b32 v1, v[1:2], off
.LBB3_2:
	s_or_b32 exec_lo, exec_lo, s2
	v_or_b32_e32 v18, 32, v17
	s_mov_b32 s2, exec_lo
	s_delay_alu instid0(VALU_DEP_1)
	v_cmpx_gt_u32_e64 s14, v18
	s_cbranch_execz .LBB3_4
; %bb.3:
	v_mov_b32_e32 v18, 0
	s_delay_alu instid0(VALU_DEP_1) | instskip(NEXT) | instid1(VALU_DEP_1)
	v_lshlrev_b64 v[18:19], 2, v[17:18]
	v_add_co_u32 v18, vcc_lo, s4, v18
	s_delay_alu instid0(VALU_DEP_2)
	v_add_co_ci_u32_e32 v19, vcc_lo, s5, v19, vcc_lo
	global_load_b32 v2, v[18:19], off offset:128
.LBB3_4:
	s_or_b32 exec_lo, exec_lo, s2
	v_or_b32_e32 v18, 64, v17
	s_mov_b32 s2, exec_lo
	s_delay_alu instid0(VALU_DEP_1)
	v_cmpx_gt_u32_e64 s14, v18
	s_cbranch_execz .LBB3_6
; %bb.5:
	v_mov_b32_e32 v18, 0
	s_delay_alu instid0(VALU_DEP_1) | instskip(NEXT) | instid1(VALU_DEP_1)
	v_lshlrev_b64 v[18:19], 2, v[17:18]
	v_add_co_u32 v18, vcc_lo, s4, v18
	s_delay_alu instid0(VALU_DEP_2)
	v_add_co_ci_u32_e32 v19, vcc_lo, s5, v19, vcc_lo
	global_load_b32 v3, v[18:19], off offset:256
.LBB3_6:
	;; [unrolled: 15-line block ×15, first 2 shown]
	s_or_b32 exec_lo, exec_lo, s2
	s_load_b64 s[4:5], s[0:1], 0x30
	v_lshlrev_b32_e64 v17, v42, -1
	v_add_nc_u32_e32 v33, v41, v42
	s_mov_b64 s[8:9], 0
	s_delay_alu instid0(VALU_DEP_2) | instskip(SKIP_2) | instid1(SALU_CYCLE_1)
	v_not_b32_e32 v34, v17
                                        ; implicit-def: $vgpr17
	s_waitcnt lgkmcnt(0)
	s_lshl_b32 s2, s5, 3
	s_add_i32 s4, s2, s4
	s_branch .LBB3_34
.LBB3_33:                               ;   in Loop: Header=BB3_34 Depth=1
	s_or_b32 exec_lo, exec_lo, s2
	v_and_b32_e32 v36, v36, v34
	v_and_b32_e32 v35, 0xffff, v35
	v_add_nc_u32_e32 v33, 32, v33
	s_mov_b32 m0, s8
	s_add_u32 s8, s8, 1
	v_bcnt_u32_b32 v36, v36, 0
	s_addc_u32 s9, s9, 0
	s_cmp_eq_u32 s8, 16
	s_waitcnt lgkmcnt(0)
	s_barrier
	v_add_nc_u32_e32 v35, v36, v35
	buffer_gl0_inv
	v_movreld_b32_e32 v17, v35
	s_cbranch_scc1 .LBB3_36
.LBB3_34:                               ; =>This Inner Loop Header: Depth=1
	s_mov_b32 m0, s8
	v_cmp_gt_u32_e32 vcc_lo, s14, v33
	s_waitcnt vmcnt(0)
	v_movrels_b32_e32 v35, v1
	s_delay_alu instid0(VALU_DEP_1) | instskip(SKIP_1) | instid1(VALU_DEP_2)
	v_bfe_u32 v36, v35, s4, 1
	v_lshrrev_b32_e32 v35, s4, v35
	v_add_co_u32 v36, s2, v36, -1
	s_delay_alu instid0(VALU_DEP_1) | instskip(NEXT) | instid1(VALU_DEP_3)
	v_cndmask_b32_e64 v37, 0, 1, s2
	v_bfe_u32 v38, v35, 1, 1
	v_bfe_u32 v39, v35, 2, 1
	;; [unrolled: 1-line block ×4, first 2 shown]
	v_cmp_ne_u32_e64 s2, 0, v37
	v_add_co_u32 v37, s3, v38, -1
	s_delay_alu instid0(VALU_DEP_1) | instskip(SKIP_1) | instid1(VALU_DEP_1)
	v_cndmask_b32_e64 v38, 0, 1, s3
	v_add_co_u32 v39, s3, v39, -1
	v_cndmask_b32_e64 v46, 0, 1, s3
	v_xor_b32_e32 v36, s2, v36
	s_delay_alu instid0(VALU_DEP_4) | instskip(SKIP_1) | instid1(VALU_DEP_1)
	v_cmp_ne_u32_e64 s2, 0, v38
	v_add_co_u32 v38, s3, v40, -1
	v_cndmask_b32_e64 v40, 0, 1, s3
	v_cmp_ne_u32_e64 s3, 0, v46
	v_and_b32_e32 v36, vcc_lo, v36
	v_xor_b32_e32 v37, s2, v37
	v_add_co_u32 v45, s2, v45, -1
	s_delay_alu instid0(VALU_DEP_1)
	v_cndmask_b32_e64 v46, 0, 1, s2
	v_cmp_ne_u32_e32 vcc_lo, 0, v40
	v_xor_b32_e32 v39, s3, v39
	v_and_b32_e32 v36, v36, v37
	v_bfe_u32 v37, v35, 5, 1
	v_cmp_ne_u32_e64 s2, 0, v46
	v_xor_b32_e32 v38, vcc_lo, v38
	v_bfe_u32 v40, v35, 6, 1
	v_and_b32_e32 v36, v36, v39
	v_add_co_u32 v37, s3, v37, -1
	s_delay_alu instid0(VALU_DEP_1) | instskip(SKIP_1) | instid1(VALU_DEP_4)
	v_cndmask_b32_e64 v39, 0, 1, s3
	v_xor_b32_e32 v45, s2, v45
	v_and_b32_e32 v36, v36, v38
	v_add_co_u32 v38, s2, v40, -1
	s_delay_alu instid0(VALU_DEP_4)
	v_cmp_ne_u32_e32 vcc_lo, 0, v39
	v_cndmask_b32_e64 v39, 0, 1, s2
	v_bfe_u32 v40, v35, 7, 1
	v_lshlrev_b32_e32 v35, 3, v35
	v_and_b32_e32 v36, v36, v45
	v_xor_b32_e32 v37, vcc_lo, v37
	v_cmp_ne_u32_e32 vcc_lo, 0, v39
	v_add_co_u32 v39, s2, v40, -1
	s_delay_alu instid0(VALU_DEP_1) | instskip(SKIP_3) | instid1(VALU_DEP_4)
	v_cndmask_b32_e64 v40, 0, 1, s2
	v_and_or_b32 v35, 0x7f8, v35, v43
	v_and_b32_e32 v36, v36, v37
	v_xor_b32_e32 v38, vcc_lo, v38
	v_cmp_ne_u32_e32 vcc_lo, 0, v40
	s_delay_alu instid0(VALU_DEP_4) | instskip(NEXT) | instid1(VALU_DEP_3)
	v_lshlrev_b32_e32 v37, 1, v35
	v_and_b32_e32 v36, v36, v38
	v_xor_b32_e32 v38, vcc_lo, v39
	ds_load_u16 v35, v37 offset:512
	s_waitcnt lgkmcnt(0)
	s_barrier
	buffer_gl0_inv
	v_and_b32_e32 v36, v36, v38
	s_delay_alu instid0(VALU_DEP_1) | instskip(SKIP_1) | instid1(VALU_DEP_2)
	v_ctz_i32_b32_e32 v38, v36
	v_cmp_ne_u32_e32 vcc_lo, 0, v36
	v_cmp_eq_u32_e64 s2, v38, v42
	s_delay_alu instid0(VALU_DEP_1) | instskip(NEXT) | instid1(SALU_CYCLE_1)
	s_and_b32 s3, vcc_lo, s2
	s_and_saveexec_b32 s2, s3
	s_cbranch_execz .LBB3_33
; %bb.35:                               ;   in Loop: Header=BB3_34 Depth=1
	v_add_nc_u32_e32 v37, 0x200, v37
	v_bcnt_u32_b32 v38, v36, v35
	ds_store_b16 v37, v38
	s_branch .LBB3_33
.LBB3_36:
	v_cmp_gt_u32_e32 vcc_lo, 0x100, v0
	s_barrier
	buffer_gl0_inv
	s_and_saveexec_b32 s2, vcc_lo
	s_cbranch_execz .LBB3_38
; %bb.37:
	v_lshlrev_b32_e32 v37, 4, v0
	ds_load_2addr_b32 v[33:34], v37 offset0:130 offset1:131
	ds_load_2addr_b32 v[35:36], v37 offset0:128 offset1:129
	s_waitcnt lgkmcnt(0)
	v_pk_add_u16 v34, v36, v34
	v_pk_add_u16 v33, v35, v33
	s_delay_alu instid0(VALU_DEP_1) | instskip(NEXT) | instid1(VALU_DEP_1)
	v_pk_add_u16 v33, v33, v34
	v_lshrrev_b32_e32 v34, 16, v33
	s_delay_alu instid0(VALU_DEP_1)
	v_add_nc_u16 v33, v33, v34
	v_mad_i32_i24 v34, v0, -14, v37
	ds_store_b16 v34, v33
.LBB3_38:
	s_or_b32 exec_lo, exec_lo, s2
	s_clause 0x1
	s_load_b128 s[8:11], s[0:1], 0x18
	s_load_b64 s[12:13], s[0:1], 0x28
	v_cmp_eq_u32_e64 s0, 0, v0
	s_cmpk_gt_u32 s15, 0x3ff
	s_cselect_b32 s1, -1, 0
	s_delay_alu instid0(VALU_DEP_1) | instid1(SALU_CYCLE_1)
	s_and_b32 s1, s0, s1
	s_delay_alu instid0(SALU_CYCLE_1)
	s_and_saveexec_b32 s2, s1
	s_cbranch_execz .LBB3_43
; %bb.39:
	v_mov_b32_e32 v33, 0
	s_branch .LBB3_41
.LBB3_40:                               ;   in Loop: Header=BB3_41 Depth=1
	s_or_b32 exec_lo, exec_lo, s3
	s_waitcnt vmcnt(0)
	v_readfirstlane_b32 s1, v34
	s_delay_alu instid0(VALU_DEP_1) | instskip(NEXT) | instid1(SALU_CYCLE_1)
	s_and_not1_b32 s1, s1, 31
	s_addk_i32 s1, 0x3c0
	s_delay_alu instid0(SALU_CYCLE_1)
	s_cmp_le_u32 s1, s15
	s_cbranch_scc0 .LBB3_43
.LBB3_41:                               ; =>This Inner Loop Header: Depth=1
	v_mbcnt_lo_u32_b32 v34, exec_lo, 0
	s_delay_alu instid0(VALU_DEP_1) | instskip(NEXT) | instid1(VALU_DEP_1)
	v_cmp_eq_u32_e64 s1, 0, v34
                                        ; implicit-def: $vgpr34
	s_and_saveexec_b32 s3, s1
	s_cbranch_execz .LBB3_40
; %bb.42:                               ;   in Loop: Header=BB3_41 Depth=1
	s_waitcnt lgkmcnt(0)
	global_load_b32 v34, v33, s[12:13] glc
	s_branch .LBB3_40
.LBB3_43:
	s_or_b32 exec_lo, exec_lo, s2
	s_waitcnt lgkmcnt(0)
	s_barrier
	buffer_gl0_inv
	s_and_saveexec_b32 s3, vcc_lo
	s_cbranch_execz .LBB3_51
; %bb.44:
	ds_load_u16 v45, v44
	s_lshl_b32 s1, s15, 8
	s_bfe_u32 s2, s15, 0x60018
	v_and_or_b32 v35, 0x3ff00, s1, v0
	v_mov_b32_e32 v34, 0
	v_lshl_or_b32 v33, s5, 8, v0
	s_lshl_b32 s18, s2, 24
	s_and_b32 s17, s15, 0xff0000
	v_lshlrev_b32_e32 v35, 3, v35
	s_or_b32 s1, s18, 2.0
	v_lshlrev_b64 v[37:38], 2, v[33:34]
	v_or_b32_e64 v36, s1, s17
	s_and_b32 s5, s15, 0xff00
	s_and_b32 s19, s15, 0xff
	v_add_co_u32 v35, s1, s10, v35
	s_delay_alu instid0(VALU_DEP_2)
	v_or3_b32 v40, v36, s5, s19
	v_add_co_ci_u32_e64 v36, null, s11, 0, s1
	v_add_co_u32 v37, s1, s8, v37
	s_waitcnt lgkmcnt(0)
	v_or3_b32 v39, v45, 0, 0
	v_add_co_ci_u32_e64 v38, s1, s9, v38, s1
	s_mov_b32 s8, 0
	s_mov_b32 s9, s15
	flat_store_b64 v[35:36], v[39:40] dlc
	s_waitcnt_vscnt null, 0x0
	global_load_b32 v33, v[37:38], off
                                        ; implicit-def: $sgpr1
	s_branch .LBB3_46
	.p2align	6
.LBB3_45:                               ;   in Loop: Header=BB3_46 Depth=1
                                        ; implicit-def: $sgpr9
	s_and_b32 s2, exec_lo, s1
	s_delay_alu instid0(SALU_CYCLE_1) | instskip(NEXT) | instid1(SALU_CYCLE_1)
	s_or_b32 s8, s2, s8
	s_and_not1_b32 exec_lo, exec_lo, s8
	s_cbranch_execz .LBB3_50
.LBB3_46:                               ; =>This Loop Header: Depth=1
                                        ;     Child Loop BB3_48 Depth 2
	s_or_b32 s1, s1, exec_lo
	s_cmp_lt_i32 s9, 1
	s_cbranch_scc1 .LBB3_45
; %bb.47:                               ;   in Loop: Header=BB3_46 Depth=1
	s_add_i32 s9, s9, -1
	s_mov_b32 s21, 0
	s_lshl_b32 s1, s9, 8
	s_delay_alu instid0(SALU_CYCLE_1) | instskip(SKIP_1) | instid1(SALU_CYCLE_1)
	v_and_or_b32 v37, 0x3ff00, s1, v0
	s_sub_i32 s1, s15, s9
	s_cmp_eq_u32 s1, 64
	s_cselect_b32 s20, 2, 3
	s_delay_alu instid0(VALU_DEP_1) | instskip(NEXT) | instid1(VALU_DEP_1)
	v_lshlrev_b32_e32 v37, 3, v37
	v_add_co_u32 v37, s1, s10, v37
	s_delay_alu instid0(VALU_DEP_1)
	v_add_co_ci_u32_e64 v38, null, s11, 0, s1
.LBB3_48:                               ;   Parent Loop BB3_46 Depth=1
                                        ; =>  This Inner Loop Header: Depth=2
	flat_load_b64 v[39:40], v[37:38] glc dlc
	s_waitcnt vmcnt(0) lgkmcnt(0)
	v_lshrrev_b32_e32 v46, 30, v40
	v_and_b32_e32 v40, 0x3fffffff, v40
	s_delay_alu instid0(VALU_DEP_2) | instskip(NEXT) | instid1(VALU_DEP_2)
	v_and_b32_e32 v47, s20, v46
	v_cmp_eq_u32_e64 s2, s9, v40
	s_delay_alu instid0(VALU_DEP_2) | instskip(NEXT) | instid1(VALU_DEP_1)
	v_cmp_ne_u32_e64 s1, 0, v47
	s_and_b32 s1, s1, s2
	s_delay_alu instid0(SALU_CYCLE_1) | instskip(NEXT) | instid1(SALU_CYCLE_1)
	s_and_b32 s1, exec_lo, s1
	s_or_b32 s21, s1, s21
	s_delay_alu instid0(SALU_CYCLE_1)
	s_and_not1_b32 exec_lo, exec_lo, s21
	s_cbranch_execnz .LBB3_48
; %bb.49:                               ;   in Loop: Header=BB3_46 Depth=1
	s_or_b32 exec_lo, exec_lo, s21
	v_add_nc_u32_e32 v34, v34, v39
	v_cmp_eq_u32_e64 s1, 2, v46
	s_delay_alu instid0(VALU_DEP_1) | instskip(NEXT) | instid1(SALU_CYCLE_1)
	s_and_b32 s2, exec_lo, s1
	s_or_b32 s8, s2, s8
	s_delay_alu instid0(SALU_CYCLE_1)
	s_and_not1_b32 exec_lo, exec_lo, s8
	s_cbranch_execnz .LBB3_46
.LBB3_50:
	s_or_b32 exec_lo, exec_lo, s8
	v_add_nc_u32_e32 v37, v34, v45
	s_bitset1_b32 s18, 31
	s_waitcnt vmcnt(0)
	v_add_nc_u32_e32 v39, v34, v33
	v_or_b32_e64 v38, s18, s17
	v_or_b32_e32 v37, 0, v37
	s_delay_alu instid0(VALU_DEP_2) | instskip(NEXT) | instid1(VALU_DEP_2)
	v_or3_b32 v34, v38, s5, s19
	v_or3_b32 v33, v37, 0, 0
	v_lshlrev_b32_e32 v37, 2, v0
	flat_store_b64 v[35:36], v[33:34] dlc
	s_waitcnt_vscnt null, 0x0
	ds_store_b32 v37, v39 offset:20480
.LBB3_51:
	s_or_b32 exec_lo, exec_lo, s3
; %bb.52:
	s_waitcnt lgkmcnt(0)
	s_barrier
	buffer_gl0_inv
	s_and_saveexec_b32 s1, s0
	s_cbranch_execz .LBB3_58
; %bb.53:
	v_mov_b32_e32 v33, 0
	s_branch .LBB3_55
.LBB3_54:                               ;   in Loop: Header=BB3_55 Depth=1
	s_or_b32 exec_lo, exec_lo, s2
	s_waitcnt vmcnt(0)
	v_readfirstlane_b32 s0, v34
	s_delay_alu instid0(VALU_DEP_1) | instskip(NEXT) | instid1(SALU_CYCLE_1)
	s_xor_b32 s0, s0, s15
	s_cmp_gt_u32 s0, 31
	s_cbranch_scc0 .LBB3_57
.LBB3_55:                               ; =>This Inner Loop Header: Depth=1
	v_mbcnt_lo_u32_b32 v34, exec_lo, 0
	s_delay_alu instid0(VALU_DEP_1) | instskip(NEXT) | instid1(VALU_DEP_1)
	v_cmp_eq_u32_e64 s0, 0, v34
                                        ; implicit-def: $vgpr34
	s_and_saveexec_b32 s2, s0
	s_cbranch_execz .LBB3_54
; %bb.56:                               ;   in Loop: Header=BB3_55 Depth=1
	global_load_b32 v34, v33, s[12:13] glc
	s_branch .LBB3_54
.LBB3_57:
	s_add_i32 s0, s14, 0xfff
	s_delay_alu instid0(SALU_CYCLE_1) | instskip(NEXT) | instid1(SALU_CYCLE_1)
	s_lshr_b32 s0, s0, 12
	s_add_i32 s0, s0, -1
	s_delay_alu instid0(SALU_CYCLE_1)
	v_dual_mov_b32 v33, 0 :: v_dual_mov_b32 v34, s0
	global_atomic_inc_u32 v33, v34, s[12:13]
.LBB3_58:
	s_or_b32 exec_lo, exec_lo, s1
	v_cmp_gt_u32_e64 s0, 0x100, v0
	v_mov_b32_e32 v33, 0
	s_waitcnt_vscnt null, 0x0
	s_barrier
	buffer_gl0_inv
	s_and_saveexec_b32 s1, s0
	s_cbranch_execz .LBB3_60
; %bb.59:
	ds_load_u16 v33, v44
.LBB3_60:
	s_or_b32 exec_lo, exec_lo, s1
	v_or_b32_e32 v35, 0xffffff00, v0
	s_waitcnt lgkmcnt(0)
	v_mov_b32_e32 v34, v33
	s_mov_b32 s2, exec_lo
	s_delay_alu instid0(VALU_DEP_2)
	v_cmpx_lt_u32_e32 0xffffff00, v35
	s_cbranch_execz .LBB3_62
; %bb.61:
	v_add_nc_u32_e32 v34, -2, v44
	ds_load_u16 v34, v34
	s_waitcnt lgkmcnt(0)
	v_add_nc_u16 v34, v34, v33
.LBB3_62:
	s_or_b32 exec_lo, exec_lo, s2
	s_barrier
	buffer_gl0_inv
	s_and_saveexec_b32 s1, s0
	s_cbranch_execz .LBB3_64
; %bb.63:
	ds_store_b16 v44, v34
.LBB3_64:
	s_or_b32 exec_lo, exec_lo, s1
	s_delay_alu instid0(SALU_CYCLE_1)
	s_mov_b32 s2, exec_lo
	s_waitcnt lgkmcnt(0)
	s_barrier
	buffer_gl0_inv
	v_cmpx_lt_u32_e32 0xffffff01, v35
	s_cbranch_execz .LBB3_66
; %bb.65:
	v_add_nc_u32_e32 v36, -4, v44
	ds_load_u16 v36, v36
	s_waitcnt lgkmcnt(0)
	v_add_nc_u16 v34, v36, v34
.LBB3_66:
	s_or_b32 exec_lo, exec_lo, s2
	s_barrier
	buffer_gl0_inv
	s_and_saveexec_b32 s1, s0
	s_cbranch_execz .LBB3_68
; %bb.67:
	ds_store_b16 v44, v34
.LBB3_68:
	s_or_b32 exec_lo, exec_lo, s1
	s_delay_alu instid0(SALU_CYCLE_1)
	s_mov_b32 s2, exec_lo
	s_waitcnt lgkmcnt(0)
	s_barrier
	buffer_gl0_inv
	;; [unrolled: 22-line block ×4, first 2 shown]
	v_cmpx_lt_u32_e32 0xffffff0f, v35
	s_cbranch_execz .LBB3_78
; %bb.77:
	v_subrev_nc_u32_e32 v36, 32, v44
	ds_load_u16 v36, v36
	s_waitcnt lgkmcnt(0)
	v_add_nc_u16 v34, v36, v34
.LBB3_78:
	s_or_b32 exec_lo, exec_lo, s2
	s_barrier
	buffer_gl0_inv
	s_and_saveexec_b32 s1, s0
	s_cbranch_execz .LBB3_80
; %bb.79:
	ds_store_b16 v44, v34
.LBB3_80:
	s_or_b32 exec_lo, exec_lo, s1
	s_delay_alu instid0(SALU_CYCLE_1)
	s_mov_b32 s2, exec_lo
	s_waitcnt lgkmcnt(0)
	s_barrier
	buffer_gl0_inv
	v_cmpx_lt_u32_e32 0xffffff1f, v35
	s_cbranch_execz .LBB3_82
; %bb.81:
	v_subrev_nc_u32_e32 v36, 64, v44
	ds_load_u16 v36, v36
	s_waitcnt lgkmcnt(0)
	v_add_nc_u16 v34, v36, v34
.LBB3_82:
	s_or_b32 exec_lo, exec_lo, s2
	s_barrier
	buffer_gl0_inv
	s_and_saveexec_b32 s1, s0
	s_cbranch_execz .LBB3_84
; %bb.83:
	ds_store_b16 v44, v34
.LBB3_84:
	s_or_b32 exec_lo, exec_lo, s1
	s_delay_alu instid0(SALU_CYCLE_1)
	s_mov_b32 s2, exec_lo
	s_waitcnt lgkmcnt(0)
	s_barrier
	buffer_gl0_inv
	v_cmpx_lt_u32_e32 0xffffff3f, v35
	s_cbranch_execz .LBB3_86
; %bb.85:
	v_add_nc_u32_e32 v35, 0xffffff80, v44
	ds_load_u16 v35, v35
	s_waitcnt lgkmcnt(0)
	v_add_nc_u16 v34, v35, v34
.LBB3_86:
	s_or_b32 exec_lo, exec_lo, s2
	s_barrier
	buffer_gl0_inv
	s_and_saveexec_b32 s1, s0
	s_cbranch_execz .LBB3_88
; %bb.87:
	ds_store_b16 v44, v34
.LBB3_88:
	s_or_b32 exec_lo, exec_lo, s1
	v_and_b32_e32 v35, 0x80, v0
	s_mov_b32 s2, exec_lo
	s_waitcnt lgkmcnt(0)
	s_barrier
	buffer_gl0_inv
	v_cmpx_ne_u32_e32 0, v35
	s_cbranch_execz .LBB3_90
; %bb.89:
	v_add_nc_u32_e32 v35, 0xffffff00, v44
	ds_load_u16 v35, v35
	s_waitcnt lgkmcnt(0)
	v_add_nc_u16 v34, v35, v34
.LBB3_90:
	s_or_b32 exec_lo, exec_lo, s2
	s_barrier
	buffer_gl0_inv
	s_and_saveexec_b32 s1, s0
	s_cbranch_execz .LBB3_92
; %bb.91:
	ds_store_b16 v44, v34
.LBB3_92:
	s_or_b32 exec_lo, exec_lo, s1
	s_waitcnt lgkmcnt(0)
	s_barrier
	buffer_gl0_inv
	s_barrier
	buffer_gl0_inv
	s_and_saveexec_b32 s1, s0
	s_cbranch_execz .LBB3_94
; %bb.93:
	v_sub_nc_u16 v33, v34, v33
	ds_store_b16 v44, v33
.LBB3_94:
	s_or_b32 exec_lo, exec_lo, s1
	v_lshlrev_b32_e32 v33, 2, v0
	s_waitcnt lgkmcnt(0)
	s_barrier
	buffer_gl0_inv
	s_and_saveexec_b32 s0, vcc_lo
	s_cbranch_execz .LBB3_96
; %bb.95:
	ds_load_u16 v37, v44
	v_lshlrev_b32_e32 v38, 2, v0
	v_mad_u32_u24 v34, v0, 14, v44
	v_lshlrev_b32_e32 v39, 4, v0
	ds_load_b32 v40, v38 offset:20480
	ds_load_u16 v44, v34 offset:512
	s_waitcnt lgkmcnt(2)
	ds_store_b16 v34, v37 offset:512
	ds_load_b96 v[34:36], v39 offset:514
	v_and_b32_e32 v37, 0xffff, v37
	s_waitcnt lgkmcnt(2)
	s_delay_alu instid0(VALU_DEP_1)
	v_add_nc_u32_e32 v44, v44, v37
	v_sub_nc_u32_e32 v37, v40, v37
	s_waitcnt lgkmcnt(0)
	v_and_b32_e32 v45, 0xffff, v34
	v_lshrrev_b32_e32 v34, 16, v34
	v_lshrrev_b32_e32 v49, 16, v36
	s_delay_alu instid0(VALU_DEP_3) | instskip(NEXT) | instid1(VALU_DEP_1)
	v_add_nc_u32_e32 v45, v44, v45
	v_add_nc_u32_e32 v46, v45, v34
	v_lshrrev_b32_e32 v34, 16, v35
	s_delay_alu instid0(VALU_DEP_2) | instskip(NEXT) | instid1(VALU_DEP_1)
	v_add_nc_u32_e32 v35, v46, v35
	v_add_nc_u16 v47, v34, v35
	v_perm_b32 v34, v45, v44, 0x5040100
	v_perm_b32 v35, v35, v46, 0x5040100
	s_delay_alu instid0(VALU_DEP_3) | instskip(NEXT) | instid1(VALU_DEP_1)
	v_add_nc_u16 v48, v36, v47
	v_perm_b32 v36, v48, v47, 0x5040100
	v_add_nc_u16 v40, v49, v48
	ds_store_b32 v38, v37 offset:20480
	ds_store_b96 v39, v[34:36] offset:514
	ds_store_b16 v39, v40 offset:526
.LBB3_96:
	s_or_b32 exec_lo, exec_lo, s0
	v_lshrrev_b32_e32 v34, s4, v1
	v_lshrrev_b32_e32 v45, s4, v9
	;; [unrolled: 1-line block ×16, first 2 shown]
	v_lshlrev_b32_e32 v34, 3, v34
	v_lshlrev_b32_e32 v45, 3, v45
	;; [unrolled: 1-line block ×16, first 2 shown]
	v_and_or_b32 v34, 0x7f8, v34, v43
	v_and_or_b32 v45, 0x7f8, v45, v43
	v_and_or_b32 v35, 0x7f8, v35, v43
	v_and_or_b32 v46, 0x7f8, v46, v43
	v_and_or_b32 v36, 0x7f8, v36, v43
	v_and_or_b32 v47, 0x7f8, v47, v43
	v_and_or_b32 v37, 0x7f8, v37, v43
	v_and_or_b32 v48, 0x7f8, v48, v43
	v_and_or_b32 v38, 0x7f8, v38, v43
	v_and_or_b32 v39, 0x7f8, v39, v43
	v_and_or_b32 v40, 0x7f8, v40, v43
	v_and_or_b32 v44, 0x7f8, v44, v43
	v_and_or_b32 v49, 0x7f8, v49, v43
	v_and_or_b32 v50, 0x7f8, v50, v43
	v_and_or_b32 v51, 0x7f8, v51, v43
	v_and_or_b32 v43, 0x7f8, v52, v43
	v_lshlrev_b32_e32 v34, 1, v34
	v_lshlrev_b32_e32 v45, 1, v45
	;; [unrolled: 1-line block ×16, first 2 shown]
	s_waitcnt lgkmcnt(0)
	s_barrier
	buffer_gl0_inv
	ds_load_u16 v34, v34 offset:512
	ds_load_u16 v35, v35 offset:512
	;; [unrolled: 1-line block ×16, first 2 shown]
	s_mov_b64 s[0:1], 0
	s_mov_b32 s2, 0
	s_waitcnt lgkmcnt(0)
	s_barrier
	buffer_gl0_inv
	v_add_nc_u32_e32 v17, v17, v34
	v_add_nc_u32_e32 v18, v18, v35
	;; [unrolled: 1-line block ×16, first 2 shown]
	s_branch .LBB3_98
	.p2align	6
.LBB3_97:                               ;   in Loop: Header=BB3_98 Depth=1
	s_or_b32 exec_lo, exec_lo, s3
	v_add_nc_u32_e32 v34, 32, v42
	v_cmp_lt_u32_e32 vcc_lo, 0x1df, v42
	s_add_u32 s0, s0, 1
	s_addc_u32 s1, s1, 0
	s_delay_alu instid0(VALU_DEP_2) | instskip(SKIP_1) | instid1(SALU_CYCLE_1)
	v_mov_b32_e32 v42, v34
	s_or_b32 s2, vcc_lo, s2
	s_and_not1_b32 exec_lo, exec_lo, s2
	s_cbranch_execz .LBB3_100
.LBB3_98:                               ; =>This Inner Loop Header: Depth=1
	s_delay_alu instid0(VALU_DEP_1) | instskip(SKIP_1) | instid1(VALU_DEP_1)
	v_add_nc_u32_e32 v34, v41, v42
	s_mov_b32 s3, exec_lo
	v_cmpx_gt_u32_e64 s14, v34
	s_cbranch_execz .LBB3_97
; %bb.99:                               ;   in Loop: Header=BB3_98 Depth=1
	s_mov_b32 m0, s0
	v_movrels_b32_e32 v34, v17
	v_movrels_b32_e32 v35, v1
	s_delay_alu instid0(VALU_DEP_2)
	v_lshlrev_b32_e32 v34, 2, v34
	ds_store_b32 v34, v35
	s_branch .LBB3_97
.LBB3_100:
	s_or_b32 exec_lo, exec_lo, s2
	v_mov_b32_e32 v2, 0
	s_mov_b32 s0, 0
	s_waitcnt lgkmcnt(0)
	s_barrier
	buffer_gl0_inv
	s_set_inst_prefetch_distance 0x1
	s_branch .LBB3_102
	.p2align	6
.LBB3_101:                              ;   in Loop: Header=BB3_102 Depth=1
	s_or_b32 exec_lo, exec_lo, s1
	v_add_nc_u32_e32 v1, 0x100, v0
	v_cmp_lt_u32_e32 vcc_lo, 0xeff, v0
	s_delay_alu instid0(VALU_DEP_2) | instskip(SKIP_1) | instid1(SALU_CYCLE_1)
	v_dual_mov_b32 v0, v1 :: v_dual_add_nc_u32 v33, 0x400, v33
	s_or_b32 s0, vcc_lo, s0
	s_and_not1_b32 exec_lo, exec_lo, s0
	s_cbranch_execz .LBB3_104
.LBB3_102:                              ; =>This Inner Loop Header: Depth=1
	s_delay_alu instid0(VALU_DEP_1) | instskip(SKIP_1) | instid1(VALU_DEP_1)
	v_add_nc_u32_e32 v1, s16, v0
	s_mov_b32 s1, exec_lo
	v_cmpx_gt_u32_e64 s14, v1
	s_cbranch_execz .LBB3_101
; %bb.103:                              ;   in Loop: Header=BB3_102 Depth=1
	ds_load_b32 v5, v33
	s_waitcnt lgkmcnt(0)
	v_bfe_u32 v1, v5, s4, 8
	s_delay_alu instid0(VALU_DEP_1) | instskip(SKIP_3) | instid1(VALU_DEP_1)
	v_lshlrev_b32_e32 v1, 2, v1
	ds_load_b32 v1, v1 offset:20480
	s_waitcnt lgkmcnt(0)
	v_add_nc_u32_e32 v1, v0, v1
	v_lshlrev_b64 v[3:4], 2, v[1:2]
	s_delay_alu instid0(VALU_DEP_1) | instskip(NEXT) | instid1(VALU_DEP_2)
	v_add_co_u32 v3, vcc_lo, s6, v3
	v_add_co_ci_u32_e32 v4, vcc_lo, s7, v4, vcc_lo
	global_store_b32 v[3:4], v5, off
	s_branch .LBB3_101
.LBB3_104:
	s_set_inst_prefetch_distance 0x2
	s_nop 0
	s_sendmsg sendmsg(MSG_DEALLOC_VGPRS)
	s_endpgm
	.section	.rodata,"a",@progbits
	.p2align	6, 0x0
	.amdhsa_kernel OnesweepReorderKey64
		.amdhsa_group_segment_fixed_size 21504
		.amdhsa_private_segment_fixed_size 0
		.amdhsa_kernarg_size 56
		.amdhsa_user_sgpr_count 15
		.amdhsa_user_sgpr_dispatch_ptr 0
		.amdhsa_user_sgpr_queue_ptr 0
		.amdhsa_user_sgpr_kernarg_segment_ptr 1
		.amdhsa_user_sgpr_dispatch_id 0
		.amdhsa_user_sgpr_private_segment_size 0
		.amdhsa_wavefront_size32 1
		.amdhsa_uses_dynamic_stack 0
		.amdhsa_enable_private_segment 0
		.amdhsa_system_sgpr_workgroup_id_x 1
		.amdhsa_system_sgpr_workgroup_id_y 0
		.amdhsa_system_sgpr_workgroup_id_z 0
		.amdhsa_system_sgpr_workgroup_info 0
		.amdhsa_system_vgpr_workitem_id 0
		.amdhsa_next_free_vgpr 53
		.amdhsa_next_free_sgpr 22
		.amdhsa_reserve_vcc 1
		.amdhsa_float_round_mode_32 0
		.amdhsa_float_round_mode_16_64 0
		.amdhsa_float_denorm_mode_32 3
		.amdhsa_float_denorm_mode_16_64 3
		.amdhsa_dx10_clamp 1
		.amdhsa_ieee_mode 1
		.amdhsa_fp16_overflow 0
		.amdhsa_workgroup_processor_mode 1
		.amdhsa_memory_ordered 1
		.amdhsa_forward_progress 0
		.amdhsa_shared_vgpr_count 0
		.amdhsa_exception_fp_ieee_invalid_op 0
		.amdhsa_exception_fp_denorm_src 0
		.amdhsa_exception_fp_ieee_div_zero 0
		.amdhsa_exception_fp_ieee_overflow 0
		.amdhsa_exception_fp_ieee_underflow 0
		.amdhsa_exception_fp_ieee_inexact 0
		.amdhsa_exception_int_div_zero 0
	.end_amdhsa_kernel
	.text
.Lfunc_end3:
	.size	OnesweepReorderKey64, .Lfunc_end3-OnesweepReorderKey64
                                        ; -- End function
	.section	.AMDGPU.csdata,"",@progbits
; Kernel info:
; codeLenInByte = 4816
; NumSgprs: 24
; NumVgprs: 53
; ScratchSize: 0
; MemoryBound: 0
; FloatMode: 240
; IeeeMode: 1
; LDSByteSize: 21504 bytes/workgroup (compile time only)
; SGPRBlocks: 2
; VGPRBlocks: 6
; NumSGPRsForWavesPerEU: 24
; NumVGPRsForWavesPerEU: 53
; Occupancy: 12
; WaveLimiterHint : 0
; COMPUTE_PGM_RSRC2:SCRATCH_EN: 0
; COMPUTE_PGM_RSRC2:USER_SGPR: 15
; COMPUTE_PGM_RSRC2:TRAP_HANDLER: 0
; COMPUTE_PGM_RSRC2:TGID_X_EN: 1
; COMPUTE_PGM_RSRC2:TGID_Y_EN: 0
; COMPUTE_PGM_RSRC2:TGID_Z_EN: 0
; COMPUTE_PGM_RSRC2:TIDIG_COMP_CNT: 0
	.text
	.protected	OnesweepReorderKeyPair64 ; -- Begin function OnesweepReorderKeyPair64
	.globl	OnesweepReorderKeyPair64
	.p2align	8
	.type	OnesweepReorderKeyPair64,@function
OnesweepReorderKeyPair64:               ; @OnesweepReorderKeyPair64
; %bb.0:
	s_clause 0x1
	s_load_b32 s14, s[0:1], 0x20
	s_load_b256 s[4:11], s[0:1], 0x0
	v_lshrrev_b32_e32 v43, 5, v0
	s_lshl_b32 s20, s15, 12
	v_and_b32_e32 v42, 31, v0
	v_mov_b32_e32 v18, 0
	v_lshlrev_b32_e32 v44, 1, v0
	v_lshl_or_b32 v41, v43, 9, s20
	s_mov_b32 s2, exec_lo
	ds_store_b16 v44, v18 offset:512
	ds_store_b16 v44, v18 offset:1024
	;; [unrolled: 1-line block ×8, first 2 shown]
	v_or_b32_e32 v17, v41, v42
	s_waitcnt lgkmcnt(0)
	s_barrier
	buffer_gl0_inv
                                        ; implicit-def: $vgpr1_vgpr2_vgpr3_vgpr4_vgpr5_vgpr6_vgpr7_vgpr8_vgpr9_vgpr10_vgpr11_vgpr12_vgpr13_vgpr14_vgpr15_vgpr16
	v_cmpx_gt_u32_e64 s14, v17
	s_cbranch_execz .LBB4_2
; %bb.1:
	v_lshlrev_b64 v[1:2], 2, v[17:18]
	s_delay_alu instid0(VALU_DEP_1) | instskip(NEXT) | instid1(VALU_DEP_2)
	v_add_co_u32 v1, vcc_lo, s4, v1
	v_add_co_ci_u32_e32 v2, vcc_lo, s5, v2, vcc_lo
	global_load_b32 v1, v[1:2], off
.LBB4_2:
	s_or_b32 exec_lo, exec_lo, s2
	v_or_b32_e32 v18, 32, v17
	s_mov_b32 s2, exec_lo
	s_delay_alu instid0(VALU_DEP_1)
	v_cmpx_gt_u32_e64 s14, v18
	s_cbranch_execz .LBB4_4
; %bb.3:
	v_mov_b32_e32 v18, 0
	s_delay_alu instid0(VALU_DEP_1) | instskip(NEXT) | instid1(VALU_DEP_1)
	v_lshlrev_b64 v[18:19], 2, v[17:18]
	v_add_co_u32 v18, vcc_lo, s4, v18
	s_delay_alu instid0(VALU_DEP_2)
	v_add_co_ci_u32_e32 v19, vcc_lo, s5, v19, vcc_lo
	global_load_b32 v2, v[18:19], off offset:128
.LBB4_4:
	s_or_b32 exec_lo, exec_lo, s2
	v_or_b32_e32 v18, 64, v17
	s_mov_b32 s2, exec_lo
	s_delay_alu instid0(VALU_DEP_1)
	v_cmpx_gt_u32_e64 s14, v18
	s_cbranch_execz .LBB4_6
; %bb.5:
	v_mov_b32_e32 v18, 0
	s_delay_alu instid0(VALU_DEP_1) | instskip(NEXT) | instid1(VALU_DEP_1)
	v_lshlrev_b64 v[18:19], 2, v[17:18]
	v_add_co_u32 v18, vcc_lo, s4, v18
	s_delay_alu instid0(VALU_DEP_2)
	v_add_co_ci_u32_e32 v19, vcc_lo, s5, v19, vcc_lo
	global_load_b32 v3, v[18:19], off offset:256
.LBB4_6:
	s_or_b32 exec_lo, exec_lo, s2
	v_or_b32_e32 v18, 0x60, v17
	s_mov_b32 s2, exec_lo
	s_delay_alu instid0(VALU_DEP_1)
	v_cmpx_gt_u32_e64 s14, v18
	s_cbranch_execz .LBB4_8
; %bb.7:
	v_mov_b32_e32 v18, 0
	s_delay_alu instid0(VALU_DEP_1) | instskip(NEXT) | instid1(VALU_DEP_1)
	v_lshlrev_b64 v[18:19], 2, v[17:18]
	v_add_co_u32 v18, vcc_lo, s4, v18
	s_delay_alu instid0(VALU_DEP_2)
	v_add_co_ci_u32_e32 v19, vcc_lo, s5, v19, vcc_lo
	global_load_b32 v4, v[18:19], off offset:384
.LBB4_8:
	s_or_b32 exec_lo, exec_lo, s2
	v_or_b32_e32 v18, 0x80, v17
	s_mov_b32 s2, exec_lo
	s_delay_alu instid0(VALU_DEP_1)
	v_cmpx_gt_u32_e64 s14, v18
	s_cbranch_execz .LBB4_10
; %bb.9:
	v_mov_b32_e32 v18, 0
	s_delay_alu instid0(VALU_DEP_1) | instskip(NEXT) | instid1(VALU_DEP_1)
	v_lshlrev_b64 v[18:19], 2, v[17:18]
	v_add_co_u32 v18, vcc_lo, s4, v18
	s_delay_alu instid0(VALU_DEP_2)
	v_add_co_ci_u32_e32 v19, vcc_lo, s5, v19, vcc_lo
	global_load_b32 v5, v[18:19], off offset:512
.LBB4_10:
	s_or_b32 exec_lo, exec_lo, s2
	v_or_b32_e32 v18, 0xa0, v17
	s_mov_b32 s2, exec_lo
	s_delay_alu instid0(VALU_DEP_1)
	v_cmpx_gt_u32_e64 s14, v18
	s_cbranch_execz .LBB4_12
; %bb.11:
	v_mov_b32_e32 v18, 0
	s_delay_alu instid0(VALU_DEP_1) | instskip(NEXT) | instid1(VALU_DEP_1)
	v_lshlrev_b64 v[18:19], 2, v[17:18]
	v_add_co_u32 v18, vcc_lo, s4, v18
	s_delay_alu instid0(VALU_DEP_2)
	v_add_co_ci_u32_e32 v19, vcc_lo, s5, v19, vcc_lo
	global_load_b32 v6, v[18:19], off offset:640
.LBB4_12:
	s_or_b32 exec_lo, exec_lo, s2
	v_or_b32_e32 v18, 0xc0, v17
	s_mov_b32 s2, exec_lo
	s_delay_alu instid0(VALU_DEP_1)
	v_cmpx_gt_u32_e64 s14, v18
	s_cbranch_execz .LBB4_14
; %bb.13:
	v_mov_b32_e32 v18, 0
	s_delay_alu instid0(VALU_DEP_1) | instskip(NEXT) | instid1(VALU_DEP_1)
	v_lshlrev_b64 v[18:19], 2, v[17:18]
	v_add_co_u32 v18, vcc_lo, s4, v18
	s_delay_alu instid0(VALU_DEP_2)
	v_add_co_ci_u32_e32 v19, vcc_lo, s5, v19, vcc_lo
	global_load_b32 v7, v[18:19], off offset:768
.LBB4_14:
	s_or_b32 exec_lo, exec_lo, s2
	v_or_b32_e32 v18, 0xe0, v17
	s_mov_b32 s2, exec_lo
	s_delay_alu instid0(VALU_DEP_1)
	v_cmpx_gt_u32_e64 s14, v18
	s_cbranch_execz .LBB4_16
; %bb.15:
	v_mov_b32_e32 v18, 0
	s_delay_alu instid0(VALU_DEP_1) | instskip(NEXT) | instid1(VALU_DEP_1)
	v_lshlrev_b64 v[18:19], 2, v[17:18]
	v_add_co_u32 v18, vcc_lo, s4, v18
	s_delay_alu instid0(VALU_DEP_2)
	v_add_co_ci_u32_e32 v19, vcc_lo, s5, v19, vcc_lo
	global_load_b32 v8, v[18:19], off offset:896
.LBB4_16:
	s_or_b32 exec_lo, exec_lo, s2
	v_or_b32_e32 v18, 0x100, v17
	s_mov_b32 s2, exec_lo
	s_delay_alu instid0(VALU_DEP_1)
	v_cmpx_gt_u32_e64 s14, v18
	s_cbranch_execz .LBB4_18
; %bb.17:
	v_mov_b32_e32 v18, 0
	s_delay_alu instid0(VALU_DEP_1) | instskip(NEXT) | instid1(VALU_DEP_1)
	v_lshlrev_b64 v[18:19], 2, v[17:18]
	v_add_co_u32 v18, vcc_lo, s4, v18
	s_delay_alu instid0(VALU_DEP_2)
	v_add_co_ci_u32_e32 v19, vcc_lo, s5, v19, vcc_lo
	global_load_b32 v9, v[18:19], off offset:1024
.LBB4_18:
	s_or_b32 exec_lo, exec_lo, s2
	v_or_b32_e32 v18, 0x120, v17
	s_mov_b32 s2, exec_lo
	s_delay_alu instid0(VALU_DEP_1)
	v_cmpx_gt_u32_e64 s14, v18
	s_cbranch_execz .LBB4_20
; %bb.19:
	v_mov_b32_e32 v18, 0
	s_delay_alu instid0(VALU_DEP_1) | instskip(NEXT) | instid1(VALU_DEP_1)
	v_lshlrev_b64 v[18:19], 2, v[17:18]
	v_add_co_u32 v18, vcc_lo, s4, v18
	s_delay_alu instid0(VALU_DEP_2)
	v_add_co_ci_u32_e32 v19, vcc_lo, s5, v19, vcc_lo
	global_load_b32 v10, v[18:19], off offset:1152
.LBB4_20:
	s_or_b32 exec_lo, exec_lo, s2
	v_or_b32_e32 v18, 0x140, v17
	s_mov_b32 s2, exec_lo
	s_delay_alu instid0(VALU_DEP_1)
	v_cmpx_gt_u32_e64 s14, v18
	s_cbranch_execz .LBB4_22
; %bb.21:
	v_mov_b32_e32 v18, 0
	s_delay_alu instid0(VALU_DEP_1) | instskip(NEXT) | instid1(VALU_DEP_1)
	v_lshlrev_b64 v[18:19], 2, v[17:18]
	v_add_co_u32 v18, vcc_lo, s4, v18
	s_delay_alu instid0(VALU_DEP_2)
	v_add_co_ci_u32_e32 v19, vcc_lo, s5, v19, vcc_lo
	global_load_b32 v11, v[18:19], off offset:1280
.LBB4_22:
	s_or_b32 exec_lo, exec_lo, s2
	v_or_b32_e32 v18, 0x160, v17
	s_mov_b32 s2, exec_lo
	s_delay_alu instid0(VALU_DEP_1)
	v_cmpx_gt_u32_e64 s14, v18
	s_cbranch_execz .LBB4_24
; %bb.23:
	v_mov_b32_e32 v18, 0
	s_delay_alu instid0(VALU_DEP_1) | instskip(NEXT) | instid1(VALU_DEP_1)
	v_lshlrev_b64 v[18:19], 2, v[17:18]
	v_add_co_u32 v18, vcc_lo, s4, v18
	s_delay_alu instid0(VALU_DEP_2)
	v_add_co_ci_u32_e32 v19, vcc_lo, s5, v19, vcc_lo
	global_load_b32 v12, v[18:19], off offset:1408
.LBB4_24:
	s_or_b32 exec_lo, exec_lo, s2
	v_or_b32_e32 v18, 0x180, v17
	s_mov_b32 s2, exec_lo
	s_delay_alu instid0(VALU_DEP_1)
	v_cmpx_gt_u32_e64 s14, v18
	s_cbranch_execz .LBB4_26
; %bb.25:
	v_mov_b32_e32 v18, 0
	s_delay_alu instid0(VALU_DEP_1) | instskip(NEXT) | instid1(VALU_DEP_1)
	v_lshlrev_b64 v[18:19], 2, v[17:18]
	v_add_co_u32 v18, vcc_lo, s4, v18
	s_delay_alu instid0(VALU_DEP_2)
	v_add_co_ci_u32_e32 v19, vcc_lo, s5, v19, vcc_lo
	global_load_b32 v13, v[18:19], off offset:1536
.LBB4_26:
	s_or_b32 exec_lo, exec_lo, s2
	v_or_b32_e32 v18, 0x1a0, v17
	s_mov_b32 s2, exec_lo
	s_delay_alu instid0(VALU_DEP_1)
	v_cmpx_gt_u32_e64 s14, v18
	s_cbranch_execz .LBB4_28
; %bb.27:
	v_mov_b32_e32 v18, 0
	s_delay_alu instid0(VALU_DEP_1) | instskip(NEXT) | instid1(VALU_DEP_1)
	v_lshlrev_b64 v[18:19], 2, v[17:18]
	v_add_co_u32 v18, vcc_lo, s4, v18
	s_delay_alu instid0(VALU_DEP_2)
	v_add_co_ci_u32_e32 v19, vcc_lo, s5, v19, vcc_lo
	global_load_b32 v14, v[18:19], off offset:1664
.LBB4_28:
	s_or_b32 exec_lo, exec_lo, s2
	v_or_b32_e32 v18, 0x1c0, v17
	s_mov_b32 s2, exec_lo
	s_delay_alu instid0(VALU_DEP_1)
	v_cmpx_gt_u32_e64 s14, v18
	s_cbranch_execz .LBB4_30
; %bb.29:
	v_mov_b32_e32 v18, 0
	s_delay_alu instid0(VALU_DEP_1) | instskip(NEXT) | instid1(VALU_DEP_1)
	v_lshlrev_b64 v[18:19], 2, v[17:18]
	v_add_co_u32 v18, vcc_lo, s4, v18
	s_delay_alu instid0(VALU_DEP_2)
	v_add_co_ci_u32_e32 v19, vcc_lo, s5, v19, vcc_lo
	global_load_b32 v15, v[18:19], off offset:1792
.LBB4_30:
	s_or_b32 exec_lo, exec_lo, s2
	v_or_b32_e32 v18, 0x1e0, v17
	s_mov_b32 s2, exec_lo
	s_delay_alu instid0(VALU_DEP_1)
	v_cmpx_gt_u32_e64 s14, v18
	s_cbranch_execz .LBB4_32
; %bb.31:
	v_mov_b32_e32 v18, 0
	s_delay_alu instid0(VALU_DEP_1) | instskip(NEXT) | instid1(VALU_DEP_1)
	v_lshlrev_b64 v[16:17], 2, v[17:18]
	v_add_co_u32 v16, vcc_lo, s4, v16
	s_delay_alu instid0(VALU_DEP_2)
	v_add_co_ci_u32_e32 v17, vcc_lo, s5, v17, vcc_lo
	global_load_b32 v16, v[16:17], off offset:1920
.LBB4_32:
	s_or_b32 exec_lo, exec_lo, s2
	s_load_b64 s[4:5], s[0:1], 0x40
	v_lshlrev_b32_e64 v17, v42, -1
	v_add_nc_u32_e32 v33, v41, v42
	s_mov_b64 s[12:13], 0
	s_delay_alu instid0(VALU_DEP_2) | instskip(SKIP_2) | instid1(SALU_CYCLE_1)
	v_not_b32_e32 v34, v17
                                        ; implicit-def: $vgpr17
	s_waitcnt lgkmcnt(0)
	s_lshl_b32 s2, s5, 3
	s_add_i32 s4, s2, s4
	s_branch .LBB4_34
.LBB4_33:                               ;   in Loop: Header=BB4_34 Depth=1
	s_or_b32 exec_lo, exec_lo, s2
	v_and_b32_e32 v36, v36, v34
	v_and_b32_e32 v35, 0xffff, v35
	v_add_nc_u32_e32 v33, 32, v33
	s_mov_b32 m0, s12
	s_add_u32 s12, s12, 1
	v_bcnt_u32_b32 v36, v36, 0
	s_addc_u32 s13, s13, 0
	s_cmp_eq_u32 s12, 16
	s_waitcnt lgkmcnt(0)
	s_barrier
	v_add_nc_u32_e32 v35, v36, v35
	buffer_gl0_inv
	v_movreld_b32_e32 v17, v35
	s_cbranch_scc1 .LBB4_36
.LBB4_34:                               ; =>This Inner Loop Header: Depth=1
	s_mov_b32 m0, s12
	v_cmp_gt_u32_e32 vcc_lo, s14, v33
	s_waitcnt vmcnt(0)
	v_movrels_b32_e32 v35, v1
	s_delay_alu instid0(VALU_DEP_1) | instskip(SKIP_1) | instid1(VALU_DEP_2)
	v_bfe_u32 v36, v35, s4, 1
	v_lshrrev_b32_e32 v35, s4, v35
	v_add_co_u32 v36, s2, v36, -1
	s_delay_alu instid0(VALU_DEP_1) | instskip(NEXT) | instid1(VALU_DEP_3)
	v_cndmask_b32_e64 v37, 0, 1, s2
	v_bfe_u32 v38, v35, 1, 1
	v_bfe_u32 v39, v35, 2, 1
	;; [unrolled: 1-line block ×4, first 2 shown]
	v_cmp_ne_u32_e64 s2, 0, v37
	v_add_co_u32 v37, s3, v38, -1
	s_delay_alu instid0(VALU_DEP_1) | instskip(SKIP_1) | instid1(VALU_DEP_1)
	v_cndmask_b32_e64 v38, 0, 1, s3
	v_add_co_u32 v39, s3, v39, -1
	v_cndmask_b32_e64 v46, 0, 1, s3
	v_xor_b32_e32 v36, s2, v36
	s_delay_alu instid0(VALU_DEP_4) | instskip(SKIP_1) | instid1(VALU_DEP_1)
	v_cmp_ne_u32_e64 s2, 0, v38
	v_add_co_u32 v38, s3, v40, -1
	v_cndmask_b32_e64 v40, 0, 1, s3
	v_cmp_ne_u32_e64 s3, 0, v46
	v_and_b32_e32 v36, vcc_lo, v36
	v_xor_b32_e32 v37, s2, v37
	v_add_co_u32 v45, s2, v45, -1
	s_delay_alu instid0(VALU_DEP_1)
	v_cndmask_b32_e64 v46, 0, 1, s2
	v_cmp_ne_u32_e32 vcc_lo, 0, v40
	v_xor_b32_e32 v39, s3, v39
	v_and_b32_e32 v36, v36, v37
	v_bfe_u32 v37, v35, 5, 1
	v_cmp_ne_u32_e64 s2, 0, v46
	v_xor_b32_e32 v38, vcc_lo, v38
	v_bfe_u32 v40, v35, 6, 1
	v_and_b32_e32 v36, v36, v39
	v_add_co_u32 v37, s3, v37, -1
	s_delay_alu instid0(VALU_DEP_1) | instskip(SKIP_1) | instid1(VALU_DEP_4)
	v_cndmask_b32_e64 v39, 0, 1, s3
	v_xor_b32_e32 v45, s2, v45
	v_and_b32_e32 v36, v36, v38
	v_add_co_u32 v38, s2, v40, -1
	s_delay_alu instid0(VALU_DEP_4)
	v_cmp_ne_u32_e32 vcc_lo, 0, v39
	v_cndmask_b32_e64 v39, 0, 1, s2
	v_bfe_u32 v40, v35, 7, 1
	v_lshlrev_b32_e32 v35, 3, v35
	v_and_b32_e32 v36, v36, v45
	v_xor_b32_e32 v37, vcc_lo, v37
	v_cmp_ne_u32_e32 vcc_lo, 0, v39
	v_add_co_u32 v39, s2, v40, -1
	s_delay_alu instid0(VALU_DEP_1) | instskip(SKIP_3) | instid1(VALU_DEP_4)
	v_cndmask_b32_e64 v40, 0, 1, s2
	v_and_or_b32 v35, 0x7f8, v35, v43
	v_and_b32_e32 v36, v36, v37
	v_xor_b32_e32 v38, vcc_lo, v38
	v_cmp_ne_u32_e32 vcc_lo, 0, v40
	s_delay_alu instid0(VALU_DEP_4) | instskip(NEXT) | instid1(VALU_DEP_3)
	v_lshlrev_b32_e32 v37, 1, v35
	v_and_b32_e32 v36, v36, v38
	v_xor_b32_e32 v38, vcc_lo, v39
	ds_load_u16 v35, v37 offset:512
	s_waitcnt lgkmcnt(0)
	s_barrier
	buffer_gl0_inv
	v_and_b32_e32 v36, v36, v38
	s_delay_alu instid0(VALU_DEP_1) | instskip(SKIP_1) | instid1(VALU_DEP_2)
	v_ctz_i32_b32_e32 v38, v36
	v_cmp_ne_u32_e32 vcc_lo, 0, v36
	v_cmp_eq_u32_e64 s2, v38, v42
	s_delay_alu instid0(VALU_DEP_1) | instskip(NEXT) | instid1(SALU_CYCLE_1)
	s_and_b32 s3, vcc_lo, s2
	s_and_saveexec_b32 s2, s3
	s_cbranch_execz .LBB4_33
; %bb.35:                               ;   in Loop: Header=BB4_34 Depth=1
	v_add_nc_u32_e32 v37, 0x200, v37
	v_bcnt_u32_b32 v38, v36, v35
	ds_store_b16 v37, v38
	s_branch .LBB4_33
.LBB4_36:
	v_cmp_gt_u32_e32 vcc_lo, 0x100, v0
	s_barrier
	buffer_gl0_inv
	s_and_saveexec_b32 s2, vcc_lo
	s_cbranch_execz .LBB4_38
; %bb.37:
	v_lshlrev_b32_e32 v37, 4, v0
	ds_load_2addr_b32 v[33:34], v37 offset0:130 offset1:131
	ds_load_2addr_b32 v[35:36], v37 offset0:128 offset1:129
	s_waitcnt lgkmcnt(0)
	v_pk_add_u16 v34, v36, v34
	v_pk_add_u16 v33, v35, v33
	s_delay_alu instid0(VALU_DEP_1) | instskip(NEXT) | instid1(VALU_DEP_1)
	v_pk_add_u16 v33, v33, v34
	v_lshrrev_b32_e32 v34, 16, v33
	s_delay_alu instid0(VALU_DEP_1)
	v_add_nc_u16 v33, v33, v34
	v_mad_i32_i24 v34, v0, -14, v37
	ds_store_b16 v34, v33
.LBB4_38:
	s_or_b32 exec_lo, exec_lo, s2
	s_clause 0x1
	s_load_b128 s[16:19], s[0:1], 0x28
	s_load_b64 s[12:13], s[0:1], 0x38
	v_cmp_eq_u32_e64 s0, 0, v0
	s_cmpk_gt_u32 s15, 0x3ff
	s_cselect_b32 s1, -1, 0
	s_delay_alu instid0(VALU_DEP_1) | instid1(SALU_CYCLE_1)
	s_and_b32 s1, s0, s1
	s_delay_alu instid0(SALU_CYCLE_1)
	s_and_saveexec_b32 s2, s1
	s_cbranch_execz .LBB4_43
; %bb.39:
	v_mov_b32_e32 v33, 0
	s_branch .LBB4_41
.LBB4_40:                               ;   in Loop: Header=BB4_41 Depth=1
	s_or_b32 exec_lo, exec_lo, s3
	s_waitcnt vmcnt(0)
	v_readfirstlane_b32 s1, v34
	s_delay_alu instid0(VALU_DEP_1) | instskip(NEXT) | instid1(SALU_CYCLE_1)
	s_and_not1_b32 s1, s1, 31
	s_addk_i32 s1, 0x3c0
	s_delay_alu instid0(SALU_CYCLE_1)
	s_cmp_le_u32 s1, s15
	s_cbranch_scc0 .LBB4_43
.LBB4_41:                               ; =>This Inner Loop Header: Depth=1
	v_mbcnt_lo_u32_b32 v34, exec_lo, 0
	s_delay_alu instid0(VALU_DEP_1) | instskip(NEXT) | instid1(VALU_DEP_1)
	v_cmp_eq_u32_e64 s1, 0, v34
                                        ; implicit-def: $vgpr34
	s_and_saveexec_b32 s3, s1
	s_cbranch_execz .LBB4_40
; %bb.42:                               ;   in Loop: Header=BB4_41 Depth=1
	s_waitcnt lgkmcnt(0)
	global_load_b32 v34, v33, s[12:13] glc
	s_branch .LBB4_40
.LBB4_43:
	s_or_b32 exec_lo, exec_lo, s2
	s_waitcnt lgkmcnt(0)
	s_barrier
	buffer_gl0_inv
	s_and_saveexec_b32 s3, vcc_lo
	s_cbranch_execz .LBB4_51
; %bb.44:
	ds_load_u16 v45, v44
	s_lshl_b32 s1, s15, 8
	s_bfe_u32 s2, s15, 0x60018
	v_and_or_b32 v35, 0x3ff00, s1, v0
	v_mov_b32_e32 v34, 0
	v_lshl_or_b32 v33, s5, 8, v0
	s_lshl_b32 s22, s2, 24
	s_and_b32 s21, s15, 0xff0000
	v_lshlrev_b32_e32 v35, 3, v35
	s_or_b32 s1, s22, 2.0
	v_lshlrev_b64 v[37:38], 2, v[33:34]
	v_or_b32_e64 v36, s1, s21
	s_and_b32 s5, s15, 0xff00
	s_and_b32 s23, s15, 0xff
	v_add_co_u32 v35, s1, s18, v35
	s_delay_alu instid0(VALU_DEP_2)
	v_or3_b32 v40, v36, s5, s23
	v_add_co_ci_u32_e64 v36, null, s19, 0, s1
	v_add_co_u32 v37, s1, s16, v37
	s_waitcnt lgkmcnt(0)
	v_or3_b32 v39, v45, 0, 0
	v_add_co_ci_u32_e64 v38, s1, s17, v38, s1
	s_mov_b32 s16, 0
	s_mov_b32 s17, s15
	flat_store_b64 v[35:36], v[39:40] dlc
	s_waitcnt_vscnt null, 0x0
	global_load_b32 v33, v[37:38], off
                                        ; implicit-def: $sgpr1
	s_branch .LBB4_46
	.p2align	6
.LBB4_45:                               ;   in Loop: Header=BB4_46 Depth=1
                                        ; implicit-def: $sgpr17
	s_and_b32 s2, exec_lo, s1
	s_delay_alu instid0(SALU_CYCLE_1) | instskip(NEXT) | instid1(SALU_CYCLE_1)
	s_or_b32 s16, s2, s16
	s_and_not1_b32 exec_lo, exec_lo, s16
	s_cbranch_execz .LBB4_50
.LBB4_46:                               ; =>This Loop Header: Depth=1
                                        ;     Child Loop BB4_48 Depth 2
	s_or_b32 s1, s1, exec_lo
	s_cmp_lt_i32 s17, 1
	s_cbranch_scc1 .LBB4_45
; %bb.47:                               ;   in Loop: Header=BB4_46 Depth=1
	s_add_i32 s17, s17, -1
	s_mov_b32 s25, 0
	s_lshl_b32 s1, s17, 8
	s_delay_alu instid0(SALU_CYCLE_1) | instskip(SKIP_1) | instid1(SALU_CYCLE_1)
	v_and_or_b32 v37, 0x3ff00, s1, v0
	s_sub_i32 s1, s15, s17
	s_cmp_eq_u32 s1, 64
	s_cselect_b32 s24, 2, 3
	s_delay_alu instid0(VALU_DEP_1) | instskip(NEXT) | instid1(VALU_DEP_1)
	v_lshlrev_b32_e32 v37, 3, v37
	v_add_co_u32 v37, s1, s18, v37
	s_delay_alu instid0(VALU_DEP_1)
	v_add_co_ci_u32_e64 v38, null, s19, 0, s1
.LBB4_48:                               ;   Parent Loop BB4_46 Depth=1
                                        ; =>  This Inner Loop Header: Depth=2
	flat_load_b64 v[39:40], v[37:38] glc dlc
	s_waitcnt vmcnt(0) lgkmcnt(0)
	v_lshrrev_b32_e32 v46, 30, v40
	v_and_b32_e32 v40, 0x3fffffff, v40
	s_delay_alu instid0(VALU_DEP_2) | instskip(NEXT) | instid1(VALU_DEP_2)
	v_and_b32_e32 v47, s24, v46
	v_cmp_eq_u32_e64 s2, s17, v40
	s_delay_alu instid0(VALU_DEP_2) | instskip(NEXT) | instid1(VALU_DEP_1)
	v_cmp_ne_u32_e64 s1, 0, v47
	s_and_b32 s1, s1, s2
	s_delay_alu instid0(SALU_CYCLE_1) | instskip(NEXT) | instid1(SALU_CYCLE_1)
	s_and_b32 s1, exec_lo, s1
	s_or_b32 s25, s1, s25
	s_delay_alu instid0(SALU_CYCLE_1)
	s_and_not1_b32 exec_lo, exec_lo, s25
	s_cbranch_execnz .LBB4_48
; %bb.49:                               ;   in Loop: Header=BB4_46 Depth=1
	s_or_b32 exec_lo, exec_lo, s25
	v_add_nc_u32_e32 v34, v34, v39
	v_cmp_eq_u32_e64 s1, 2, v46
	s_delay_alu instid0(VALU_DEP_1) | instskip(NEXT) | instid1(SALU_CYCLE_1)
	s_and_b32 s2, exec_lo, s1
	s_or_b32 s16, s2, s16
	s_delay_alu instid0(SALU_CYCLE_1)
	s_and_not1_b32 exec_lo, exec_lo, s16
	s_cbranch_execnz .LBB4_46
.LBB4_50:
	s_or_b32 exec_lo, exec_lo, s16
	v_add_nc_u32_e32 v37, v34, v45
	s_bitset1_b32 s22, 31
	s_waitcnt vmcnt(0)
	v_add_nc_u32_e32 v39, v34, v33
	v_or_b32_e64 v38, s22, s21
	v_or_b32_e32 v37, 0, v37
	s_delay_alu instid0(VALU_DEP_2) | instskip(NEXT) | instid1(VALU_DEP_2)
	v_or3_b32 v34, v38, s5, s23
	v_or3_b32 v33, v37, 0, 0
	v_lshlrev_b32_e32 v37, 2, v0
	flat_store_b64 v[35:36], v[33:34] dlc
	s_waitcnt_vscnt null, 0x0
	ds_store_b32 v37, v39 offset:20480
.LBB4_51:
	s_or_b32 exec_lo, exec_lo, s3
; %bb.52:
	s_waitcnt lgkmcnt(0)
	s_barrier
	buffer_gl0_inv
	s_and_saveexec_b32 s1, s0
	s_cbranch_execz .LBB4_58
; %bb.53:
	v_mov_b32_e32 v33, 0
	s_branch .LBB4_55
.LBB4_54:                               ;   in Loop: Header=BB4_55 Depth=1
	s_or_b32 exec_lo, exec_lo, s2
	s_waitcnt vmcnt(0)
	v_readfirstlane_b32 s0, v34
	s_delay_alu instid0(VALU_DEP_1) | instskip(NEXT) | instid1(SALU_CYCLE_1)
	s_xor_b32 s0, s0, s15
	s_cmp_gt_u32 s0, 31
	s_cbranch_scc0 .LBB4_57
.LBB4_55:                               ; =>This Inner Loop Header: Depth=1
	v_mbcnt_lo_u32_b32 v34, exec_lo, 0
	s_delay_alu instid0(VALU_DEP_1) | instskip(NEXT) | instid1(VALU_DEP_1)
	v_cmp_eq_u32_e64 s0, 0, v34
                                        ; implicit-def: $vgpr34
	s_and_saveexec_b32 s2, s0
	s_cbranch_execz .LBB4_54
; %bb.56:                               ;   in Loop: Header=BB4_55 Depth=1
	global_load_b32 v34, v33, s[12:13] glc
	s_branch .LBB4_54
.LBB4_57:
	s_add_i32 s0, s14, 0xfff
	s_delay_alu instid0(SALU_CYCLE_1) | instskip(NEXT) | instid1(SALU_CYCLE_1)
	s_lshr_b32 s0, s0, 12
	s_add_i32 s0, s0, -1
	s_delay_alu instid0(SALU_CYCLE_1)
	v_dual_mov_b32 v33, 0 :: v_dual_mov_b32 v34, s0
	global_atomic_inc_u32 v33, v34, s[12:13]
.LBB4_58:
	s_or_b32 exec_lo, exec_lo, s1
	v_cmp_gt_u32_e64 s0, 0x100, v0
	v_mov_b32_e32 v33, 0
	s_waitcnt_vscnt null, 0x0
	s_barrier
	buffer_gl0_inv
	s_and_saveexec_b32 s1, s0
	s_cbranch_execz .LBB4_60
; %bb.59:
	ds_load_u16 v33, v44
.LBB4_60:
	s_or_b32 exec_lo, exec_lo, s1
	v_or_b32_e32 v35, 0xffffff00, v0
	s_waitcnt lgkmcnt(0)
	v_mov_b32_e32 v34, v33
	s_mov_b32 s2, exec_lo
	s_delay_alu instid0(VALU_DEP_2)
	v_cmpx_lt_u32_e32 0xffffff00, v35
	s_cbranch_execz .LBB4_62
; %bb.61:
	v_add_nc_u32_e32 v34, -2, v44
	ds_load_u16 v34, v34
	s_waitcnt lgkmcnt(0)
	v_add_nc_u16 v34, v34, v33
.LBB4_62:
	s_or_b32 exec_lo, exec_lo, s2
	s_barrier
	buffer_gl0_inv
	s_and_saveexec_b32 s1, s0
	s_cbranch_execz .LBB4_64
; %bb.63:
	ds_store_b16 v44, v34
.LBB4_64:
	s_or_b32 exec_lo, exec_lo, s1
	s_delay_alu instid0(SALU_CYCLE_1)
	s_mov_b32 s2, exec_lo
	s_waitcnt lgkmcnt(0)
	s_barrier
	buffer_gl0_inv
	v_cmpx_lt_u32_e32 0xffffff01, v35
	s_cbranch_execz .LBB4_66
; %bb.65:
	v_add_nc_u32_e32 v36, -4, v44
	ds_load_u16 v36, v36
	s_waitcnt lgkmcnt(0)
	v_add_nc_u16 v34, v36, v34
.LBB4_66:
	s_or_b32 exec_lo, exec_lo, s2
	s_barrier
	buffer_gl0_inv
	s_and_saveexec_b32 s1, s0
	s_cbranch_execz .LBB4_68
; %bb.67:
	ds_store_b16 v44, v34
.LBB4_68:
	s_or_b32 exec_lo, exec_lo, s1
	s_delay_alu instid0(SALU_CYCLE_1)
	s_mov_b32 s2, exec_lo
	s_waitcnt lgkmcnt(0)
	s_barrier
	buffer_gl0_inv
	;; [unrolled: 22-line block ×4, first 2 shown]
	v_cmpx_lt_u32_e32 0xffffff0f, v35
	s_cbranch_execz .LBB4_78
; %bb.77:
	v_subrev_nc_u32_e32 v36, 32, v44
	ds_load_u16 v36, v36
	s_waitcnt lgkmcnt(0)
	v_add_nc_u16 v34, v36, v34
.LBB4_78:
	s_or_b32 exec_lo, exec_lo, s2
	s_barrier
	buffer_gl0_inv
	s_and_saveexec_b32 s1, s0
	s_cbranch_execz .LBB4_80
; %bb.79:
	ds_store_b16 v44, v34
.LBB4_80:
	s_or_b32 exec_lo, exec_lo, s1
	s_delay_alu instid0(SALU_CYCLE_1)
	s_mov_b32 s2, exec_lo
	s_waitcnt lgkmcnt(0)
	s_barrier
	buffer_gl0_inv
	v_cmpx_lt_u32_e32 0xffffff1f, v35
	s_cbranch_execz .LBB4_82
; %bb.81:
	v_subrev_nc_u32_e32 v36, 64, v44
	ds_load_u16 v36, v36
	s_waitcnt lgkmcnt(0)
	v_add_nc_u16 v34, v36, v34
.LBB4_82:
	s_or_b32 exec_lo, exec_lo, s2
	s_barrier
	buffer_gl0_inv
	s_and_saveexec_b32 s1, s0
	s_cbranch_execz .LBB4_84
; %bb.83:
	ds_store_b16 v44, v34
.LBB4_84:
	s_or_b32 exec_lo, exec_lo, s1
	s_delay_alu instid0(SALU_CYCLE_1)
	s_mov_b32 s2, exec_lo
	s_waitcnt lgkmcnt(0)
	s_barrier
	buffer_gl0_inv
	v_cmpx_lt_u32_e32 0xffffff3f, v35
	s_cbranch_execz .LBB4_86
; %bb.85:
	v_add_nc_u32_e32 v35, 0xffffff80, v44
	ds_load_u16 v35, v35
	s_waitcnt lgkmcnt(0)
	v_add_nc_u16 v34, v35, v34
.LBB4_86:
	s_or_b32 exec_lo, exec_lo, s2
	s_barrier
	buffer_gl0_inv
	s_and_saveexec_b32 s1, s0
	s_cbranch_execz .LBB4_88
; %bb.87:
	ds_store_b16 v44, v34
.LBB4_88:
	s_or_b32 exec_lo, exec_lo, s1
	v_and_b32_e32 v35, 0x80, v0
	s_mov_b32 s2, exec_lo
	s_waitcnt lgkmcnt(0)
	s_barrier
	buffer_gl0_inv
	v_cmpx_ne_u32_e32 0, v35
	s_cbranch_execz .LBB4_90
; %bb.89:
	v_add_nc_u32_e32 v35, 0xffffff00, v44
	ds_load_u16 v35, v35
	s_waitcnt lgkmcnt(0)
	v_add_nc_u16 v34, v35, v34
.LBB4_90:
	s_or_b32 exec_lo, exec_lo, s2
	s_barrier
	buffer_gl0_inv
	s_and_saveexec_b32 s1, s0
	s_cbranch_execz .LBB4_92
; %bb.91:
	ds_store_b16 v44, v34
.LBB4_92:
	s_or_b32 exec_lo, exec_lo, s1
	s_waitcnt lgkmcnt(0)
	s_barrier
	buffer_gl0_inv
	s_barrier
	buffer_gl0_inv
	s_and_saveexec_b32 s1, s0
	s_cbranch_execz .LBB4_94
; %bb.93:
	v_sub_nc_u16 v33, v34, v33
	ds_store_b16 v44, v33
.LBB4_94:
	s_or_b32 exec_lo, exec_lo, s1
	v_lshlrev_b32_e32 v35, 2, v0
	s_waitcnt lgkmcnt(0)
	s_barrier
	buffer_gl0_inv
	s_and_saveexec_b32 s0, vcc_lo
	s_cbranch_execz .LBB4_96
; %bb.95:
	ds_load_u16 v33, v44
	v_lshlrev_b32_e32 v34, 2, v0
	v_mad_u32_u24 v36, v0, 14, v44
	v_lshlrev_b32_e32 v39, 4, v0
	ds_load_b32 v40, v34 offset:20480
	ds_load_u16 v44, v36 offset:512
	s_waitcnt lgkmcnt(2)
	ds_store_b16 v36, v33 offset:512
	ds_load_b96 v[36:38], v39 offset:514
	v_and_b32_e32 v33, 0xffff, v33
	s_waitcnt lgkmcnt(2)
	s_delay_alu instid0(VALU_DEP_1)
	v_add_nc_u32_e32 v44, v44, v33
	v_sub_nc_u32_e32 v33, v40, v33
	s_waitcnt lgkmcnt(0)
	v_and_b32_e32 v45, 0xffff, v36
	v_lshrrev_b32_e32 v36, 16, v36
	v_lshrrev_b32_e32 v49, 16, v38
	s_delay_alu instid0(VALU_DEP_3) | instskip(NEXT) | instid1(VALU_DEP_1)
	v_add_nc_u32_e32 v45, v44, v45
	v_add_nc_u32_e32 v46, v45, v36
	v_lshrrev_b32_e32 v36, 16, v37
	s_delay_alu instid0(VALU_DEP_2) | instskip(NEXT) | instid1(VALU_DEP_1)
	v_add_nc_u32_e32 v37, v46, v37
	v_add_nc_u16 v47, v36, v37
	v_perm_b32 v36, v45, v44, 0x5040100
	v_perm_b32 v37, v37, v46, 0x5040100
	s_delay_alu instid0(VALU_DEP_3) | instskip(NEXT) | instid1(VALU_DEP_1)
	v_add_nc_u16 v48, v38, v47
	v_perm_b32 v38, v48, v47, 0x5040100
	v_add_nc_u16 v40, v49, v48
	ds_store_b32 v34, v33 offset:20480
	ds_store_b96 v39, v[36:38] offset:514
	ds_store_b16 v39, v40 offset:526
.LBB4_96:
	s_or_b32 exec_lo, exec_lo, s0
	v_lshrrev_b32_e32 v33, s4, v1
	v_lshrrev_b32_e32 v45, s4, v9
	;; [unrolled: 1-line block ×16, first 2 shown]
	v_lshlrev_b32_e32 v33, 3, v33
	v_lshlrev_b32_e32 v45, 3, v45
	;; [unrolled: 1-line block ×16, first 2 shown]
	v_and_or_b32 v33, 0x7f8, v33, v43
	v_and_or_b32 v45, 0x7f8, v45, v43
	;; [unrolled: 1-line block ×16, first 2 shown]
	v_lshlrev_b32_e32 v33, 1, v33
	v_lshlrev_b32_e32 v45, 1, v45
	;; [unrolled: 1-line block ×16, first 2 shown]
	s_waitcnt lgkmcnt(0)
	s_barrier
	buffer_gl0_inv
	ds_load_u16 v33, v33 offset:512
	ds_load_u16 v34, v34 offset:512
	;; [unrolled: 1-line block ×16, first 2 shown]
	s_mov_b64 s[0:1], 0
	s_mov_b32 s2, 0
	s_waitcnt lgkmcnt(0)
	s_barrier
	buffer_gl0_inv
	v_add_nc_u32_e32 v17, v17, v33
	v_mov_b32_e32 v33, v42
	v_add_nc_u32_e32 v18, v18, v34
	v_add_nc_u32_e32 v19, v19, v36
	;; [unrolled: 1-line block ×15, first 2 shown]
	s_branch .LBB4_98
	.p2align	6
.LBB4_97:                               ;   in Loop: Header=BB4_98 Depth=1
	s_or_b32 exec_lo, exec_lo, s3
	v_add_nc_u32_e32 v34, 32, v33
	v_cmp_lt_u32_e32 vcc_lo, 0x1df, v33
	s_add_u32 s0, s0, 1
	s_addc_u32 s1, s1, 0
	s_delay_alu instid0(VALU_DEP_2) | instskip(SKIP_1) | instid1(SALU_CYCLE_1)
	v_mov_b32_e32 v33, v34
	s_or_b32 s2, vcc_lo, s2
	s_and_not1_b32 exec_lo, exec_lo, s2
	s_cbranch_execz .LBB4_100
.LBB4_98:                               ; =>This Inner Loop Header: Depth=1
	s_delay_alu instid0(VALU_DEP_1) | instskip(SKIP_1) | instid1(VALU_DEP_1)
	v_add_nc_u32_e32 v34, v41, v33
	s_mov_b32 s3, exec_lo
	v_cmpx_gt_u32_e64 s14, v34
	s_cbranch_execz .LBB4_97
; %bb.99:                               ;   in Loop: Header=BB4_98 Depth=1
	s_mov_b32 m0, s0
	v_movrels_b32_e32 v34, v17
	v_movrels_b32_e32 v36, v1
	s_delay_alu instid0(VALU_DEP_2)
	v_lshlrev_b32_e32 v34, 2, v34
	ds_store_b32 v34, v36
	s_branch .LBB4_97
.LBB4_100:
	s_or_b32 exec_lo, exec_lo, s2
	v_dual_mov_b32 v34, 0 :: v_dual_mov_b32 v37, v0
	v_mov_b32_e32 v36, v35
	s_mov_b32 s0, 0
	s_waitcnt lgkmcnt(0)
	s_barrier
	buffer_gl0_inv
	s_set_inst_prefetch_distance 0x1
	s_branch .LBB4_102
	.p2align	6
.LBB4_101:                              ;   in Loop: Header=BB4_102 Depth=1
	s_or_b32 exec_lo, exec_lo, s1
	v_add_nc_u32_e32 v33, 0x100, v37
	v_cmp_lt_u32_e32 vcc_lo, 0xeff, v37
	s_delay_alu instid0(VALU_DEP_2) | instskip(SKIP_1) | instid1(SALU_CYCLE_1)
	v_dual_mov_b32 v37, v33 :: v_dual_add_nc_u32 v36, 0x400, v36
	s_or_b32 s0, vcc_lo, s0
	s_and_not1_b32 exec_lo, exec_lo, s0
	s_cbranch_execz .LBB4_104
.LBB4_102:                              ; =>This Inner Loop Header: Depth=1
	s_delay_alu instid0(VALU_DEP_1) | instskip(SKIP_1) | instid1(VALU_DEP_1)
	v_add_nc_u32_e32 v33, s20, v37
	s_mov_b32 s1, exec_lo
	v_cmpx_gt_u32_e64 s14, v33
	s_cbranch_execz .LBB4_101
; %bb.103:                              ;   in Loop: Header=BB4_102 Depth=1
	ds_load_b32 v40, v36
	s_waitcnt lgkmcnt(0)
	v_bfe_u32 v33, v40, s4, 8
	s_delay_alu instid0(VALU_DEP_1) | instskip(SKIP_3) | instid1(VALU_DEP_1)
	v_lshlrev_b32_e32 v33, 2, v33
	ds_load_b32 v33, v33 offset:20480
	s_waitcnt lgkmcnt(0)
	v_add_nc_u32_e32 v33, v37, v33
	v_lshlrev_b64 v[38:39], 2, v[33:34]
	s_delay_alu instid0(VALU_DEP_1) | instskip(NEXT) | instid1(VALU_DEP_2)
	v_add_co_u32 v38, vcc_lo, s6, v38
	v_add_co_ci_u32_e32 v39, vcc_lo, s7, v39, vcc_lo
	global_store_b32 v[38:39], v40, off
	s_branch .LBB4_101
.LBB4_104:
	s_set_inst_prefetch_distance 0x2
	s_or_b32 exec_lo, exec_lo, s0
	v_mov_b32_e32 v34, 0
	s_mov_b64 s[0:1], 0
	s_mov_b32 s2, 0
	s_waitcnt_vscnt null, 0x0
	s_barrier
	buffer_gl0_inv
	s_set_inst_prefetch_distance 0x1
	s_branch .LBB4_106
	.p2align	6
.LBB4_105:                              ;   in Loop: Header=BB4_106 Depth=1
	s_or_b32 exec_lo, exec_lo, s3
	v_add_nc_u32_e32 v33, 32, v42
	v_cmp_lt_u32_e32 vcc_lo, 0x1df, v42
	s_add_u32 s0, s0, 1
	s_addc_u32 s1, s1, 0
	s_delay_alu instid0(VALU_DEP_2) | instskip(SKIP_1) | instid1(SALU_CYCLE_1)
	v_mov_b32_e32 v42, v33
	s_or_b32 s2, vcc_lo, s2
	s_and_not1_b32 exec_lo, exec_lo, s2
	s_cbranch_execz .LBB4_108
.LBB4_106:                              ; =>This Inner Loop Header: Depth=1
	s_delay_alu instid0(VALU_DEP_1) | instskip(SKIP_1) | instid1(VALU_DEP_1)
	v_add_nc_u32_e32 v33, v41, v42
	s_mov_b32 s3, exec_lo
	v_cmpx_gt_u32_e64 s14, v33
	s_cbranch_execz .LBB4_105
; %bb.107:                              ;   in Loop: Header=BB4_106 Depth=1
	v_lshlrev_b64 v[36:37], 2, v[33:34]
	s_mov_b32 m0, s0
	s_delay_alu instid0(VALU_DEP_1) | instskip(NEXT) | instid1(VALU_DEP_2)
	v_add_co_u32 v36, vcc_lo, s8, v36
	v_add_co_ci_u32_e32 v37, vcc_lo, s9, v37, vcc_lo
	global_load_b32 v33, v[36:37], off
	v_movrels_b32_e32 v36, v17
	v_movrels_b32_e32 v37, v1
	s_delay_alu instid0(VALU_DEP_2) | instskip(NEXT) | instid1(VALU_DEP_2)
	v_lshlrev_b32_e32 v38, 2, v36
	v_lshrrev_b32_e32 v37, s4, v37
	s_waitcnt vmcnt(0)
	ds_store_b32 v38, v33
	ds_store_b8 v36, v37 offset:16384
	s_branch .LBB4_105
.LBB4_108:
	s_set_inst_prefetch_distance 0x2
	s_or_b32 exec_lo, exec_lo, s2
	v_mov_b32_e32 v2, 0
	s_mov_b32 s0, 0
	s_waitcnt lgkmcnt(0)
	s_barrier
	buffer_gl0_inv
	s_set_inst_prefetch_distance 0x1
	s_branch .LBB4_110
	.p2align	6
.LBB4_109:                              ;   in Loop: Header=BB4_110 Depth=1
	s_or_b32 exec_lo, exec_lo, s1
	v_add_nc_u32_e32 v1, 0x100, v0
	v_cmp_lt_u32_e32 vcc_lo, 0xeff, v0
	s_delay_alu instid0(VALU_DEP_2) | instskip(SKIP_1) | instid1(SALU_CYCLE_1)
	v_dual_mov_b32 v0, v1 :: v_dual_add_nc_u32 v35, 0x400, v35
	s_or_b32 s0, vcc_lo, s0
	s_and_not1_b32 exec_lo, exec_lo, s0
	s_cbranch_execz .LBB4_112
.LBB4_110:                              ; =>This Inner Loop Header: Depth=1
	s_delay_alu instid0(VALU_DEP_1) | instskip(SKIP_1) | instid1(VALU_DEP_1)
	v_add_nc_u32_e32 v1, s20, v0
	s_mov_b32 s1, exec_lo
	v_cmpx_gt_u32_e64 s14, v1
	s_cbranch_execz .LBB4_109
; %bb.111:                              ;   in Loop: Header=BB4_110 Depth=1
	ds_load_u8 v1, v0 offset:16384
	s_waitcnt lgkmcnt(0)
	v_lshlrev_b32_e32 v1, 2, v1
	ds_load_b32 v1, v1 offset:20480
	ds_load_b32 v5, v35
	s_waitcnt lgkmcnt(1)
	v_add_nc_u32_e32 v1, v0, v1
	s_delay_alu instid0(VALU_DEP_1) | instskip(NEXT) | instid1(VALU_DEP_1)
	v_lshlrev_b64 v[3:4], 2, v[1:2]
	v_add_co_u32 v3, vcc_lo, s10, v3
	s_delay_alu instid0(VALU_DEP_2)
	v_add_co_ci_u32_e32 v4, vcc_lo, s11, v4, vcc_lo
	s_waitcnt lgkmcnt(0)
	global_store_b32 v[3:4], v5, off
	s_branch .LBB4_109
.LBB4_112:
	s_set_inst_prefetch_distance 0x2
	s_nop 0
	s_sendmsg sendmsg(MSG_DEALLOC_VGPRS)
	s_endpgm
	.section	.rodata,"a",@progbits
	.p2align	6, 0x0
	.amdhsa_kernel OnesweepReorderKeyPair64
		.amdhsa_group_segment_fixed_size 21504
		.amdhsa_private_segment_fixed_size 0
		.amdhsa_kernarg_size 72
		.amdhsa_user_sgpr_count 15
		.amdhsa_user_sgpr_dispatch_ptr 0
		.amdhsa_user_sgpr_queue_ptr 0
		.amdhsa_user_sgpr_kernarg_segment_ptr 1
		.amdhsa_user_sgpr_dispatch_id 0
		.amdhsa_user_sgpr_private_segment_size 0
		.amdhsa_wavefront_size32 1
		.amdhsa_uses_dynamic_stack 0
		.amdhsa_enable_private_segment 0
		.amdhsa_system_sgpr_workgroup_id_x 1
		.amdhsa_system_sgpr_workgroup_id_y 0
		.amdhsa_system_sgpr_workgroup_id_z 0
		.amdhsa_system_sgpr_workgroup_info 0
		.amdhsa_system_vgpr_workitem_id 0
		.amdhsa_next_free_vgpr 53
		.amdhsa_next_free_sgpr 26
		.amdhsa_reserve_vcc 1
		.amdhsa_float_round_mode_32 0
		.amdhsa_float_round_mode_16_64 0
		.amdhsa_float_denorm_mode_32 3
		.amdhsa_float_denorm_mode_16_64 3
		.amdhsa_dx10_clamp 1
		.amdhsa_ieee_mode 1
		.amdhsa_fp16_overflow 0
		.amdhsa_workgroup_processor_mode 1
		.amdhsa_memory_ordered 1
		.amdhsa_forward_progress 0
		.amdhsa_shared_vgpr_count 0
		.amdhsa_exception_fp_ieee_invalid_op 0
		.amdhsa_exception_fp_denorm_src 0
		.amdhsa_exception_fp_ieee_div_zero 0
		.amdhsa_exception_fp_ieee_overflow 0
		.amdhsa_exception_fp_ieee_underflow 0
		.amdhsa_exception_fp_ieee_inexact 0
		.amdhsa_exception_int_div_zero 0
	.end_amdhsa_kernel
	.text
.Lfunc_end4:
	.size	OnesweepReorderKeyPair64, .Lfunc_end4-OnesweepReorderKeyPair64
                                        ; -- End function
	.section	.AMDGPU.csdata,"",@progbits
; Kernel info:
; codeLenInByte = 5216
; NumSgprs: 28
; NumVgprs: 53
; ScratchSize: 0
; MemoryBound: 0
; FloatMode: 240
; IeeeMode: 1
; LDSByteSize: 21504 bytes/workgroup (compile time only)
; SGPRBlocks: 3
; VGPRBlocks: 6
; NumSGPRsForWavesPerEU: 28
; NumVGPRsForWavesPerEU: 53
; Occupancy: 12
; WaveLimiterHint : 0
; COMPUTE_PGM_RSRC2:SCRATCH_EN: 0
; COMPUTE_PGM_RSRC2:USER_SGPR: 15
; COMPUTE_PGM_RSRC2:TRAP_HANDLER: 0
; COMPUTE_PGM_RSRC2:TGID_X_EN: 1
; COMPUTE_PGM_RSRC2:TGID_Y_EN: 0
; COMPUTE_PGM_RSRC2:TGID_Z_EN: 0
; COMPUTE_PGM_RSRC2:TIDIG_COMP_CNT: 0
	.text
	.p2alignl 7, 3214868480
	.fill 96, 4, 3214868480
	.type	__hip_cuid_1a97eeea6ca346e2,@object ; @__hip_cuid_1a97eeea6ca346e2
	.section	.bss,"aw",@nobits
	.globl	__hip_cuid_1a97eeea6ca346e2
__hip_cuid_1a97eeea6ca346e2:
	.byte	0                               ; 0x0
	.size	__hip_cuid_1a97eeea6ca346e2, 1

	.ident	"AMD clang version 19.0.0git (https://github.com/RadeonOpenCompute/llvm-project roc-6.4.0 25133 c7fe45cf4b819c5991fe208aaa96edf142730f1d)"
	.section	".note.GNU-stack","",@progbits
	.addrsig
	.addrsig_sym __hip_cuid_1a97eeea6ca346e2
	.amdgpu_metadata
---
amdhsa.kernels:
  - .args:
      - .address_space:  global
        .offset:         0
        .size:           8
        .value_kind:     global_buffer
      - .address_space:  global
        .offset:         8
        .size:           8
        .value_kind:     global_buffer
      - .offset:         16
        .size:           4
        .value_kind:     by_value
      - .offset:         20
        .size:           4
        .value_kind:     by_value
      - .offset:         24
        .size:           4
        .value_kind:     by_value
    .group_segment_fixed_size: 17456
    .kernarg_segment_align: 8
    .kernarg_segment_size: 28
    .language:       OpenCL C
    .language_version:
      - 2
      - 0
    .max_flat_workgroup_size: 1024
    .name:           SortSinglePassKernel
    .private_segment_fixed_size: 0
    .sgpr_count:     46
    .sgpr_spill_count: 0
    .symbol:         SortSinglePassKernel.kd
    .uniform_work_group_size: 1
    .uses_dynamic_stack: false
    .vgpr_count:     131
    .vgpr_spill_count: 0
    .wavefront_size: 32
    .workgroup_processor_mode: 1
  - .args:
      - .address_space:  global
        .offset:         0
        .size:           8
        .value_kind:     global_buffer
      - .address_space:  global
        .offset:         8
        .size:           8
        .value_kind:     global_buffer
      - .address_space:  global
        .offset:         16
        .size:           8
        .value_kind:     global_buffer
      - .address_space:  global
        .offset:         24
        .size:           8
        .value_kind:     global_buffer
      - .offset:         32
        .size:           4
        .value_kind:     by_value
      - .offset:         36
        .size:           4
        .value_kind:     by_value
      - .offset:         40
        .size:           4
        .value_kind:     by_value
    .group_segment_fixed_size: 29744
    .kernarg_segment_align: 8
    .kernarg_segment_size: 44
    .language:       OpenCL C
    .language_version:
      - 2
      - 0
    .max_flat_workgroup_size: 1024
    .name:           SortSinglePassKVKernel
    .private_segment_fixed_size: 0
    .sgpr_count:     50
    .sgpr_spill_count: 0
    .symbol:         SortSinglePassKVKernel.kd
    .uniform_work_group_size: 1
    .uses_dynamic_stack: false
    .vgpr_count:     155
    .vgpr_spill_count: 0
    .wavefront_size: 32
    .workgroup_processor_mode: 1
  - .args:
      - .address_space:  global
        .offset:         0
        .size:           8
        .value_kind:     global_buffer
      - .offset:         8
        .size:           4
        .value_kind:     by_value
      - .address_space:  global
        .offset:         16
        .size:           8
        .value_kind:     global_buffer
      - .offset:         24
        .size:           4
        .value_kind:     by_value
      - .address_space:  global
        .offset:         32
        .size:           8
        .value_kind:     global_buffer
    .group_segment_fixed_size: 4100
    .kernarg_segment_align: 8
    .kernarg_segment_size: 40
    .language:       OpenCL C
    .language_version:
      - 2
      - 0
    .max_flat_workgroup_size: 1024
    .name:           GHistogram
    .private_segment_fixed_size: 0
    .sgpr_count:     31
    .sgpr_spill_count: 0
    .symbol:         GHistogram.kd
    .uniform_work_group_size: 1
    .uses_dynamic_stack: false
    .vgpr_count:     10
    .vgpr_spill_count: 0
    .wavefront_size: 32
    .workgroup_processor_mode: 1
  - .args:
      - .address_space:  global
        .offset:         0
        .size:           8
        .value_kind:     global_buffer
      - .address_space:  global
        .offset:         8
        .size:           8
        .value_kind:     global_buffer
      - .offset:         16
        .size:           4
        .value_kind:     by_value
      - .address_space:  global
        .offset:         24
        .size:           8
        .value_kind:     global_buffer
      - .address_space:  global
        .offset:         32
        .size:           8
        .value_kind:     global_buffer
      - .address_space:  global
        .offset:         40
        .size:           8
        .value_kind:     global_buffer
      - .offset:         48
        .size:           4
        .value_kind:     by_value
      - .offset:         52
        .size:           4
        .value_kind:     by_value
    .group_segment_fixed_size: 21504
    .kernarg_segment_align: 8
    .kernarg_segment_size: 56
    .language:       OpenCL C
    .language_version:
      - 2
      - 0
    .max_flat_workgroup_size: 256
    .name:           OnesweepReorderKey64
    .private_segment_fixed_size: 0
    .sgpr_count:     24
    .sgpr_spill_count: 0
    .symbol:         OnesweepReorderKey64.kd
    .uniform_work_group_size: 1
    .uses_dynamic_stack: false
    .vgpr_count:     53
    .vgpr_spill_count: 0
    .wavefront_size: 32
    .workgroup_processor_mode: 1
  - .args:
      - .address_space:  global
        .offset:         0
        .size:           8
        .value_kind:     global_buffer
      - .address_space:  global
        .offset:         8
        .size:           8
        .value_kind:     global_buffer
      - .address_space:  global
        .offset:         16
        .size:           8
        .value_kind:     global_buffer
      - .address_space:  global
        .offset:         24
        .size:           8
        .value_kind:     global_buffer
      - .offset:         32
        .size:           4
        .value_kind:     by_value
      - .address_space:  global
        .offset:         40
        .size:           8
        .value_kind:     global_buffer
      - .address_space:  global
        .offset:         48
        .size:           8
        .value_kind:     global_buffer
      - .address_space:  global
        .offset:         56
        .size:           8
        .value_kind:     global_buffer
      - .offset:         64
        .size:           4
        .value_kind:     by_value
      - .offset:         68
        .size:           4
        .value_kind:     by_value
    .group_segment_fixed_size: 21504
    .kernarg_segment_align: 8
    .kernarg_segment_size: 72
    .language:       OpenCL C
    .language_version:
      - 2
      - 0
    .max_flat_workgroup_size: 256
    .name:           OnesweepReorderKeyPair64
    .private_segment_fixed_size: 0
    .sgpr_count:     28
    .sgpr_spill_count: 0
    .symbol:         OnesweepReorderKeyPair64.kd
    .uniform_work_group_size: 1
    .uses_dynamic_stack: false
    .vgpr_count:     53
    .vgpr_spill_count: 0
    .wavefront_size: 32
    .workgroup_processor_mode: 1
amdhsa.target:   amdgcn-amd-amdhsa--gfx1100
amdhsa.version:
  - 1
  - 2
...

	.end_amdgpu_metadata
